;; amdgpu-corpus repo=ROCm/aiter kind=harvested arch=n/a opt=n/a

/root/src/amdgpu-assembly/repos/ROCm__aiter/hsa/gfx942/fmoe_2stages/fmoe_stage1_bf16_pertokenFp8_blockscale_g1u1_48x256_pf2.co:	file format elf64-amdgpu

Disassembly of section .text:

0000000000002a00 <_ZN5aiter55fmoe_stage1_bf16_pertokenFp8_blockscale_g1u1_48x256_pf2E>:
	s_and_b32 s1, s1, 0xffff                                   // 000000002A00: 8601FF01 0000FFFF
	s_load_dwordx2 s[8:9], s[0:1], 0x0                         // 000000002A08: C0060200 00000000
	s_load_dwordx2 s[20:21], s[0:1], 0x10                      // 000000002A10: C0060500 00000010
	s_load_dwordx2 s[24:25], s[0:1], 0x20                      // 000000002A18: C0060600 00000020
	s_load_dwordx2 s[48:49], s[0:1], 0x30                      // 000000002A20: C0060C00 00000030
	s_load_dwordx2 s[28:29], s[0:1], 0x40                      // 000000002A28: C0060700 00000040
	s_load_dwordx2 s[32:33], s[0:1], 0x50                      // 000000002A30: C0060800 00000050
	s_load_dwordx2 s[36:37], s[0:1], 0x60                      // 000000002A38: C0060900 00000060
	s_load_dwordx2 s[12:13], s[0:1], 0x70                      // 000000002A40: C0060300 00000070
	s_load_dwordx2 s[44:45], s[0:1], 0x80                      // 000000002A48: C0060B00 00000080
	s_mov_b32 s89, 0                                           // 000000002A50: BED90080
	s_load_dword s64, s[0:1], 0x90                             // 000000002A54: C0021000 00000090
	s_load_dword s65, s[0:1], 0xa0                             // 000000002A5C: C0021040 000000A0
	s_load_dword s66, s[0:1], 0xb0                             // 000000002A64: C0021080 000000B0
	s_load_dword s67, s[0:1], 0xc0                             // 000000002A6C: C00210C0 000000C0
	s_load_dword s68, s[0:1], 0xd0                             // 000000002A74: C0021100 000000D0
	s_load_dword s69, s[0:1], 0xe0                             // 000000002A7C: C0021140 000000E0
	s_load_dword s71, s[0:1], 0xf0                             // 000000002A84: C00211C0 000000F0
	s_load_dword s72, s[0:1], 0x100                            // 000000002A8C: C0021200 00000100
	s_load_dword s74, s[0:1], 0x110                            // 000000002A94: C0021280 00000110
	s_load_dword s76, s[0:1], 0x120                            // 000000002A9C: C0021300 00000120
	s_load_dword s56, s[0:1], 0x130                            // 000000002AA4: C0020E00 00000130
	s_load_dword s88, s[0:1], 0x140                            // 000000002AAC: C0021600 00000140
	s_load_dword s89, s[0:1], 0x150                            // 000000002AB4: C0021640 00000150
	v_lshrrev_b32_e32 v1, 10, v0                               // 000000002ABC: 2002008A
	v_lshrrev_b32_e32 v2, 10, v1                               // 000000002AC0: 2004028A
	v_and_b32_e32 v2, 0x3ff, v2                                // 000000002AC4: 260404FF 000003FF
	v_and_b32_e32 v1, 0x3ff, v1                                // 000000002ACC: 260202FF 000003FF
	v_and_b32_e32 v0, 0x3ff, v0                                // 000000002AD4: 260000FF 000003FF
	v_lshrrev_b32_e32 v3, 6, v0                                // 000000002ADC: 20060086
	v_and_b32_e32 v0, 63, v0                                   // 000000002AE0: 260000BF
	s_mov_b32 s2, s2                                           // 000000002AE4: BE820002
	s_mov_b32 s3, s3                                           // 000000002AE8: BE830003
	s_mov_b32 s4, s4                                           // 000000002AEC: BE840004
	v_readfirstlane_b32 s7, v3                                 // 000000002AF0: 7E0E0503
	s_waitcnt lgkmcnt(0)                                       // 000000002AF4: BF8CC07F
	s_and_b32 s49, s49, 0xffff                                 // 000000002AF8: 8631FF31 0000FFFF
	s_load_dword s48, s[48:49], 0x0                            // 000000002B00: C0020C18 00000000
	s_and_b32 s45, s45, 0xffff                                 // 000000002B08: 862DFF2D 0000FFFF
	s_and_b32 s9, s9, 0xffff                                   // 000000002B10: 8609FF09 0000FFFF
	s_mul_i32 s60, s66, s68                                    // 000000002B18: 923C4442
	s_mul_i32 s61, s66, 4                                      // 000000002B1C: 923D8442
	s_mov_b32 s22, s60                                         // 000000002B20: BE96003C
	s_mov_b32 s26, -16                                         // 000000002B24: BE9A00D0
	s_mov_b32 s30, s61                                         // 000000002B28: BE9E003D
	s_mov_b32 s14, 0xc0                                        // 000000002B2C: BE8E00FF 000000C0
	s_mov_b32 s38, -16                                         // 000000002B34: BEA600D0
	s_mov_b32 s10, -16                                         // 000000002B38: BE8A00D0
	s_lshr_b32 s60, s64, 7                                     // 000000002B3C: 8F3C8740
	s_mul_i32 s61, s60, 4                                      // 000000002B40: 923D843C
	s_lshr_b32 s60, s65, 7                                     // 000000002B44: 8F3C8741
	s_add_u32 s60, s60, 2                                      // 000000002B48: 803C823C
	s_mul_i32 s60, s60, s61                                    // 000000002B4C: 923C3D3C
	s_mov_b32 s34, s60                                         // 000000002B50: BEA2003C
	s_mov_b32 s23, 0x20000                                     // 000000002B54: BE9700FF 00020000
	s_mov_b32 s27, 0x20000                                     // 000000002B5C: BE9B00FF 00020000
	s_mov_b32 s31, 0x20000                                     // 000000002B64: BE9F00FF 00020000
	s_mov_b32 s35, 0x20000                                     // 000000002B6C: BEA300FF 00020000
	s_mov_b32 s15, 0x20000                                     // 000000002B74: BE8F00FF 00020000
	s_mov_b32 s39, 0x20000                                     // 000000002B7C: BEA700FF 00020000
	s_mov_b32 s11, 0x20000                                     // 000000002B84: BE8B00FF 00020000
	s_and_b32 s21, s21, 0xffff                                 // 000000002B8C: 8615FF15 0000FFFF
	s_and_b32 s25, s25, 0xffff                                 // 000000002B94: 8619FF19 0000FFFF
	s_and_b32 s29, s29, 0xffff                                 // 000000002B9C: 861DFF1D 0000FFFF
	s_and_b32 s33, s33, 0xffff                                 // 000000002BA4: 8621FF21 0000FFFF
	s_and_b32 s13, s13, 0xffff                                 // 000000002BAC: 860DFF0D 0000FFFF
	s_and_b32 s37, s37, 0xffff                                 // 000000002BB4: 8625FF25 0000FFFF
	s_or_b32 s21, s21, 0x40000                                 // 000000002BBC: 8715FF15 00040000
	s_or_b32 s25, s25, 0x40000                                 // 000000002BC4: 8719FF19 00040000
	s_or_b32 s29, s29, 0x40000                                 // 000000002BCC: 871DFF1D 00040000
	s_or_b32 s33, s33, 0x40000                                 // 000000002BD4: 8721FF21 00040000
	s_or_b32 s13, s13, 0x40000                                 // 000000002BDC: 870DFF0D 00040000
	s_or_b32 s37, s37, 0x40000                                 // 000000002BE4: 8725FF25 00040000
	v_accvgpr_write_b32 a111, 0                                // 000000002BEC: D3D9406F 18000080
	v_mov_b32_e32 v147, 0                                      // 000000002BF4: 7F260280
	s_waitcnt lgkmcnt(0)                                       // 000000002BF8: BF8CC07F
	s_mul_i32 s60, s3, 48                                      // 000000002BFC: 923CB003
	s_cmp_lt_i32 s60, s48                                      // 000000002C00: BF04303C
	s_cbranch_scc0 label_20F6                                  // 000000002C04: BF842071
	s_mov_b32 s80, 0                                           // 000000002C08: BED00080
	s_lshr_b32 s81, s64, s88                                   // 000000002C0C: 8F515840
	s_mul_i32 s60, s3, 4                                       // 000000002C10: 923C8403
	s_add_u32 s44, s60, s44                                    // 000000002C14: 802C2C3C
	s_addc_u32 s45, 0, s45                                     // 000000002C18: 822D2D80
	s_load_dword s5, s[44:45], 0x0                             // 000000002C1C: C0020156 00000000
	s_mul_i32 s60, s3, 48                                      // 000000002C24: 923CB003
	s_mul_i32 s60, 4, s60                                      // 000000002C28: 923C3C84
	s_add_u32 s12, s60, s12                                    // 000000002C2C: 800C0C3C
	s_addc_u32 s13, 0, s13                                     // 000000002C30: 820D0D80
	v_and_b32_e32 v4, 15, v0                                   // 000000002C34: 2608008F
	v_lshlrev_b32_e32 v4, 2, v4                                // 000000002C38: 24080882
	buffer_load_dword v28, v4, s[12:15], 0 offen               // 000000002C3C: E0501000 80031C04
	v_add_u32_e32 v4, 64, v4                                   // 000000002C44: 680808C0
	buffer_load_dword v29, v4, s[12:15], 0 offen               // 000000002C48: E0501000 80031D04
	v_add_u32_e32 v4, 64, v4                                   // 000000002C50: 680808C0
	buffer_load_dword v30, v4, s[12:15], 0 offen               // 000000002C54: E0501000 80031E04
	v_add_u32_e32 v4, 64, v4                                   // 000000002C5C: 680808C0
	s_mul_i32 s60, 4, s7                                       // 000000002C60: 923C0784
	v_lshlrev_b32_e32 v4, 4, v0                                // 000000002C64: 24080084
	v_add_u32_e32 v4, s60, v4                                  // 000000002C68: 6808083C
	buffer_load_dword v3, v4, s[12:15], 0 offen                // 000000002C6C: E0501000 80030304
	v_mov_b32_e32 v52, 0                                       // 000000002C74: 7E680280
	v_mov_b32_e32 v100, 0                                      // 000000002C78: 7EC80280
	v_mov_b32_e32 v53, 0                                       // 000000002C7C: 7E6A0280
	v_mov_b32_e32 v101, 0                                      // 000000002C80: 7ECA0280
	v_mov_b32_e32 v54, 0                                       // 000000002C84: 7E6C0280
	v_mov_b32_e32 v102, 0                                      // 000000002C88: 7ECC0280
	v_mov_b32_e32 v55, 0                                       // 000000002C8C: 7E6E0280
	v_mov_b32_e32 v103, 0                                      // 000000002C90: 7ECE0280
	v_mov_b32_e32 v56, 0                                       // 000000002C94: 7E700280
	v_mov_b32_e32 v104, 0                                      // 000000002C98: 7ED00280
	v_mov_b32_e32 v57, 0                                       // 000000002C9C: 7E720280
	v_mov_b32_e32 v105, 0                                      // 000000002CA0: 7ED20280
	v_mov_b32_e32 v58, 0                                       // 000000002CA4: 7E740280
	v_mov_b32_e32 v106, 0                                      // 000000002CA8: 7ED40280
	v_mov_b32_e32 v59, 0                                       // 000000002CAC: 7E760280
	v_mov_b32_e32 v107, 0                                      // 000000002CB0: 7ED60280
	v_mov_b32_e32 v60, 0                                       // 000000002CB4: 7E780280
	v_mov_b32_e32 v108, 0                                      // 000000002CB8: 7ED80280
	v_mov_b32_e32 v61, 0                                       // 000000002CBC: 7E7A0280
	v_mov_b32_e32 v109, 0                                      // 000000002CC0: 7EDA0280
	v_mov_b32_e32 v62, 0                                       // 000000002CC4: 7E7C0280
	v_mov_b32_e32 v110, 0                                      // 000000002CC8: 7EDC0280
	v_mov_b32_e32 v63, 0                                       // 000000002CCC: 7E7E0280
	v_mov_b32_e32 v111, 0                                      // 000000002CD0: 7EDE0280
	v_mov_b32_e32 v64, 0                                       // 000000002CD4: 7E800280
	v_mov_b32_e32 v112, 0                                      // 000000002CD8: 7EE00280
	v_mov_b32_e32 v65, 0                                       // 000000002CDC: 7E820280
	v_mov_b32_e32 v113, 0                                      // 000000002CE0: 7EE20280
	v_mov_b32_e32 v66, 0                                       // 000000002CE4: 7E840280
	v_mov_b32_e32 v114, 0                                      // 000000002CE8: 7EE40280
	v_mov_b32_e32 v67, 0                                       // 000000002CEC: 7E860280
	v_mov_b32_e32 v115, 0                                      // 000000002CF0: 7EE60280
	v_mov_b32_e32 v68, 0                                       // 000000002CF4: 7E880280
	v_mov_b32_e32 v116, 0                                      // 000000002CF8: 7EE80280
	v_mov_b32_e32 v69, 0                                       // 000000002CFC: 7E8A0280
	v_mov_b32_e32 v117, 0                                      // 000000002D00: 7EEA0280
	v_mov_b32_e32 v70, 0                                       // 000000002D04: 7E8C0280
	v_mov_b32_e32 v118, 0                                      // 000000002D08: 7EEC0280
	v_mov_b32_e32 v71, 0                                       // 000000002D0C: 7E8E0280
	v_mov_b32_e32 v119, 0                                      // 000000002D10: 7EEE0280
	v_mov_b32_e32 v72, 0                                       // 000000002D14: 7E900280
	v_mov_b32_e32 v120, 0                                      // 000000002D18: 7EF00280
	v_mov_b32_e32 v73, 0                                       // 000000002D1C: 7E920280
	v_mov_b32_e32 v121, 0                                      // 000000002D20: 7EF20280
	v_mov_b32_e32 v74, 0                                       // 000000002D24: 7E940280
	v_mov_b32_e32 v122, 0                                      // 000000002D28: 7EF40280
	v_mov_b32_e32 v75, 0                                       // 000000002D2C: 7E960280
	v_mov_b32_e32 v123, 0                                      // 000000002D30: 7EF60280
	v_mov_b32_e32 v76, 0                                       // 000000002D34: 7E980280
	v_mov_b32_e32 v124, 0                                      // 000000002D38: 7EF80280
	v_mov_b32_e32 v77, 0                                       // 000000002D3C: 7E9A0280
	v_mov_b32_e32 v125, 0                                      // 000000002D40: 7EFA0280
	v_mov_b32_e32 v78, 0                                       // 000000002D44: 7E9C0280
	v_mov_b32_e32 v126, 0                                      // 000000002D48: 7EFC0280
	v_mov_b32_e32 v79, 0                                       // 000000002D4C: 7E9E0280
	v_mov_b32_e32 v127, 0                                      // 000000002D50: 7EFE0280
	v_mov_b32_e32 v80, 0                                       // 000000002D54: 7EA00280
	v_mov_b32_e32 v128, 0                                      // 000000002D58: 7F000280
	v_mov_b32_e32 v81, 0                                       // 000000002D5C: 7EA20280
	v_mov_b32_e32 v129, 0                                      // 000000002D60: 7F020280
	v_mov_b32_e32 v82, 0                                       // 000000002D64: 7EA40280
	v_mov_b32_e32 v130, 0                                      // 000000002D68: 7F040280
	v_mov_b32_e32 v83, 0                                       // 000000002D6C: 7EA60280
	v_mov_b32_e32 v131, 0                                      // 000000002D70: 7F060280
	v_mov_b32_e32 v84, 0                                       // 000000002D74: 7EA80280
	v_mov_b32_e32 v132, 0                                      // 000000002D78: 7F080280
	v_mov_b32_e32 v85, 0                                       // 000000002D7C: 7EAA0280
	v_mov_b32_e32 v133, 0                                      // 000000002D80: 7F0A0280
	v_mov_b32_e32 v86, 0                                       // 000000002D84: 7EAC0280
	v_mov_b32_e32 v134, 0                                      // 000000002D88: 7F0C0280
	v_mov_b32_e32 v87, 0                                       // 000000002D8C: 7EAE0280
	v_mov_b32_e32 v135, 0                                      // 000000002D90: 7F0E0280
	v_mov_b32_e32 v88, 0                                       // 000000002D94: 7EB00280
	v_mov_b32_e32 v136, 0                                      // 000000002D98: 7F100280
	v_mov_b32_e32 v89, 0                                       // 000000002D9C: 7EB20280
	v_mov_b32_e32 v137, 0                                      // 000000002DA0: 7F120280
	v_mov_b32_e32 v90, 0                                       // 000000002DA4: 7EB40280
	v_mov_b32_e32 v138, 0                                      // 000000002DA8: 7F140280
	v_mov_b32_e32 v91, 0                                       // 000000002DAC: 7EB60280
	v_mov_b32_e32 v139, 0                                      // 000000002DB0: 7F160280
	v_mov_b32_e32 v92, 0                                       // 000000002DB4: 7EB80280
	v_mov_b32_e32 v140, 0                                      // 000000002DB8: 7F180280
	v_mov_b32_e32 v93, 0                                       // 000000002DBC: 7EBA0280
	v_mov_b32_e32 v141, 0                                      // 000000002DC0: 7F1A0280
	v_mov_b32_e32 v94, 0                                       // 000000002DC4: 7EBC0280
	v_mov_b32_e32 v142, 0                                      // 000000002DC8: 7F1C0280
	v_mov_b32_e32 v95, 0                                       // 000000002DCC: 7EBE0280
	v_mov_b32_e32 v143, 0                                      // 000000002DD0: 7F1E0280
	v_mov_b32_e32 v96, 0                                       // 000000002DD4: 7EC00280
	v_mov_b32_e32 v144, 0                                      // 000000002DD8: 7F200280
	v_mov_b32_e32 v97, 0                                       // 000000002DDC: 7EC20280
	v_mov_b32_e32 v145, 0                                      // 000000002DE0: 7F220280
	v_mov_b32_e32 v98, 0                                       // 000000002DE4: 7EC40280
	v_mov_b32_e32 v146, 0                                      // 000000002DE8: 7F240280
	v_mov_b32_e32 v99, 0                                       // 000000002DEC: 7EC60280
	v_mov_b32_e32 v147, 0                                      // 000000002DF0: 7F260280
	s_mul_i32 s60, s2, 0x100                                   // 000000002DF4: 923CFF02 00000100
	s_cmp_eq_u32 s88, 0                                        // 000000002DFC: BF068058
	s_cselect_b32 s61, 1, 4                                    // 000000002E00: 853D8481
	s_mul_i32 s60, s60, s61                                    // 000000002E04: 923C3D3C
	s_mov_b32 s90, s8                                          // 000000002E08: BEDA0008
	s_mov_b32 s91, s9                                          // 000000002E0C: BEDB0009
	s_add_u32 s8, s60, s8                                      // 000000002E10: 8008083C
	s_addc_u32 s9, 0, s9                                       // 000000002E14: 82090980
	v_lshrrev_b32_e32 v4, 4, v0                                // 000000002E18: 20080084
	v_mul_lo_u32 v20, 34, v4                                   // 000000002E1C: D2850014 000208A2
	v_and_b32_e32 v4, 15, v0                                   // 000000002E24: 2608008F
	v_mul_lo_u32 v5, 2, v4                                     // 000000002E28: D2850005 00020882
	v_add_u32_e32 v20, v5, v20                                 // 000000002E30: 68282905
	s_mul_i32 s60, s7, 0x88                                    // 000000002E34: 923CFF07 00000088
	v_add_u32_e32 v20, s60, v20                                // 000000002E3C: 6828283C
	v_lshlrev_b32_e32 v20, 2, v20                              // 000000002E40: 24282882
	v_and_b32_e32 v4, 31, v0                                   // 000000002E44: 2608009F
	v_lshrrev_b32_e32 v4, 1, v4                                // 000000002E48: 20080881
	v_mul_lo_u32 v21, 34, v4                                   // 000000002E4C: D2850015 000208A2
	v_lshrrev_b32_e32 v4, 5, v0                                // 000000002E54: 20080085
	v_mul_lo_u32 v4, 8, v4                                     // 000000002E58: D2850004 00020888
	v_add_u32_e32 v21, v21, v4                                 // 000000002E60: 682A0915
	v_and_b32_e32 v5, 1, v0                                    // 000000002E64: 260A0081
	v_add_u32_e32 v21, v5, v21                                 // 000000002E68: 682A2B05
	s_mul_i32 s60, s7, 2                                       // 000000002E6C: 923C8207
	v_add_u32_e32 v21, s60, v21                                // 000000002E70: 682A2A3C
	v_lshlrev_b32_e32 v21, 2, v21                              // 000000002E74: 242A2A82
	s_mul_i32 s60, s7, 0x620                                   // 000000002E78: 923CFF07 00000620
	s_add_u32 s48, 0, s60                                      // 000000002E80: 80303C80
	s_add_u32 s49, 0x1880, s48                                 // 000000002E84: 803130FF 00001880
	v_lshrrev_b32_e32 v4, 4, v0                                // 000000002E8C: 20080084
	v_lshlrev_b32_e32 v5, 2, v4                                // 000000002E90: 240A0882
	v_and_b32_e32 v4, 15, v0                                   // 000000002E94: 2608008F
	v_lshrrev_b32_e32 v6, 2, v4                                // 000000002E98: 200C0882
	v_lshlrev_b32_e32 v6, 5, v6                                // 000000002E9C: 240C0C85
	v_add_u32_e32 v5, v6, v5                                   // 000000002EA0: 680A0B06
	v_and_b32_e32 v4, 3, v0                                    // 000000002EA4: 26080083
	v_mul_u32_u24_e32 v6, 0x188, v4                            // 000000002EA8: 100C08FF 00000188
	v_add_u32_e32 v5, v6, v5                                   // 000000002EB0: 680A0B06
	v_lshlrev_b32_e32 v2, 2, v5                                // 000000002EB4: 24040A82
	s_waitcnt lgkmcnt(0)                                       // 000000002EB8: BF8CC07F
	s_mul_i32 s60, s2, 0x100                                   // 000000002EBC: 923CFF02 00000100
	s_mul_i32 s60, s60, s69                                    // 000000002EC4: 923C453C
	s_mul_i32 s61, s5, s72                                     // 000000002EC8: 923D4805
	s_add_u32 s60, s61, s60                                    // 000000002ECC: 803C3C3D
	s_add_u32 s24, s60, s24                                    // 000000002ED0: 8018183C
	s_addc_u32 s25, 0, s25                                     // 000000002ED4: 82191980
	s_lshr_b32 s60, s64, s88                                   // 000000002ED8: 8F3C5840
	s_mul_i32 s60, s4, s60                                     // 000000002EDC: 923C3C04
	s_lshr_b32 s60, s60, 7                                     // 000000002EE0: 8F3C873C
	s_mul_i32 s60, s60, 0x800                                  // 000000002EE4: 923CFF3C 00000800
	s_add_u32 s24, s60, s24                                    // 000000002EEC: 8018183C
	s_addc_u32 s25, 0, s25                                     // 000000002EF0: 82191980
	s_lshr_b32 s60, s69, s88                                   // 000000002EF4: 8F3C5845
	s_mul_i32 s60, s4, s60                                     // 000000002EF8: 923C3C04
	s_add_u32 s20, s60, s20                                    // 000000002EFC: 8014143C
	s_addc_u32 s21, 0, s21                                     // 000000002F00: 82151580
	s_mul_i32 s60, s7, 16                                      // 000000002F04: 923C9007
	s_mul_i32 s60, s60, s69                                    // 000000002F08: 923C453C
	v_lshlrev_b32_e32 v46, 4, v0                               // 000000002F0C: 245C0084
	v_add_u32_e32 v46, s60, v46                                // 000000002F10: 685C5C3C
	s_mul_i32 s60, 64, s69                                     // 000000002F14: 923C45C0
	v_add_u32_e32 v47, s60, v46                                // 000000002F18: 685E5C3C
	v_add_u32_e32 v48, s60, v47                                // 000000002F1C: 68605E3C
	v_add_u32_e32 v49, s60, v48                                // 000000002F20: 6862603C
	s_mov_b32 s84, s24                                         // 000000002F24: BED40018
	s_mov_b32 s85, s25                                         // 000000002F28: BED50019
	s_mov_b32 s86, s26                                         // 000000002F2C: BED6001A
	s_mov_b32 s87, s27                                         // 000000002F30: BED7001B
	s_mul_i32 s60, s69, s65                                    // 000000002F34: 923C4145
	s_add_u32 s84, s60, s84                                    // 000000002F38: 8054543C
	s_addc_u32 s85, 0, s85                                     // 000000002F3C: 82555580
	s_lshr_b32 s60, s64, 7                                     // 000000002F40: 8F3C8740
	s_mul_i32 s61, s60, 4                                      // 000000002F44: 923D843C
	v_and_b32_e32 v22, 15, v0                                  // 000000002F48: 262C008F
	v_mul_lo_u32 v22, v22, s61                                 // 000000002F4C: D2850016 00007B16
	s_lshr_b32 s60, s65, 7                                     // 000000002F54: 8F3C8741
	s_mul_i32 s60, s60, s61                                    // 000000002F58: 923C3D3C
	v_add_u32_e64 v23, v22, s60                                // 000000002F5C: D1340017 00007916
	s_mul_i32 s60, s2, 2                                       // 000000002F64: 923C8202
	s_mul_i32 s60, s60, s61                                    // 000000002F68: 923C3D3C
	s_mul_i32 s61, s5, s74                                     // 000000002F6C: 923D4A05
	s_add_u32 s61, s61, s60                                    // 000000002F70: 803D3C3D
	s_add_u32 s32, s61, s32                                    // 000000002F74: 8020203D
	s_addc_u32 s33, 0, s33                                     // 000000002F78: 82212180
	s_lshr_b32 s60, s64, 7                                     // 000000002F7C: 8F3C8740
	s_lshr_b32 s60, s60, s88                                   // 000000002F80: 8F3C583C
	s_mul_i32 s60, s4, s60                                     // 000000002F84: 923C3C04
	s_mul_i32 s61, s60, 4                                      // 000000002F88: 923D843C
	s_add_u32 s32, s61, s32                                    // 000000002F8C: 8020203D
	s_addc_u32 s33, 0, s33                                     // 000000002F90: 82212180
	s_lshl_b32 s62, s66, 2                                     // 000000002F94: 8E3E8242
	s_mul_i32 s62, s60, s62                                    // 000000002F98: 923E3E3C
	s_add_u32 s28, s62, s28                                    // 000000002F9C: 801C1C3E
	s_addc_u32 s29, 0, s29                                     // 000000002FA0: 821D1D80
	s_mov_b32 s4, 4                                            // 000000002FA4: BE840084
	s_mov_b32 s57, 0x80                                        // 000000002FA8: BEB900FF 00000080
	s_mov_b32 s58, 0x800                                       // 000000002FB0: BEBA00FF 00000800
	s_mov_b32 s83, s58                                         // 000000002FB8: BED3003A
	s_mov_b32 s52, 0x7060302                                   // 000000002FBC: BEB400FF 07060302
	s_mov_b32 s53, 0x400                                       // 000000002FC4: BEB500FF 00000400
	s_mov_b32 s54, 0x40100                                     // 000000002FCC: BEB600FF 00040100
	s_mov_b32 s55, 0x4020100                                   // 000000002FD4: BEB700FF 04020100
	s_mov_b32 s6, 0x3fb8aa3b                                   // 000000002FDC: BE8600FF 3FB8AA3B
	s_mov_b32 s78, 0xbd92220c                                  // 000000002FE4: BECE00FF BD92220C
	s_mov_b32 s79, 0xbd92220c                                  // 000000002FEC: BECF00FF BD92220C
	s_mov_b32 m0, s48                                          // 000000002FF4: BEFC0030
	v_mov_b32_e32 v1, 0xbfcc4231                               // 000000002FF8: 7E0202FF BFCC4231
	v_mov_b32_e32 v17, 0xffff0000                              // 000000003000: 7E2202FF FFFF0000
	v_mov_b32_e32 v18, 0x7fff0000                              // 000000003008: 7E2402FF 7FFF0000
	v_mov_b32_e32 v19, 0x7fff                                  // 000000003010: 7E2602FF 00007FFF
	s_waitcnt vmcnt(0) expcnt(0) lgkmcnt(0)                    // 000000003018: BF8C0000
	v_lshrrev_b32_e32 v4, 5, v0                                // 00000000301C: 20080085
	v_xor_b32_e32 v5, 1, v4                                    // 000000003020: 2A0A0881
	v_readlane_b32 s82, v3, 0                                  // 000000003024: D2890052 00010103
	s_and_b32 s82, s82, 0xffffff                               // 00000000302C: 8652FF52 00FFFFFF
	v_mul_lo_u32 v6, v5, s82                                   // 000000003034: D2850006 0000A505
	v_readlane_b32 s82, v3, 1                                  // 00000000303C: D2890052 00010303
	s_and_b32 s82, s82, 0xffffff                               // 000000003044: 8652FF52 00FFFFFF
	v_mul_lo_u32 v7, v4, s82                                   // 00000000304C: D2850007 0000A504
	v_add_u32_e32 v40, v6, v7                                  // 000000003054: 68500F06
	v_mul_lo_u32 v40, v40, s68                                 // 000000003058: D2850028 00008928
	v_readlane_b32 s82, v3, 2                                  // 000000003060: D2890052 00010503
	s_and_b32 s82, s82, 0xffffff                               // 000000003068: 8652FF52 00FFFFFF
	v_mul_lo_u32 v6, v5, s82                                   // 000000003070: D2850006 0000A505
	v_readlane_b32 s82, v3, 3                                  // 000000003078: D2890052 00010703
	s_and_b32 s82, s82, 0xffffff                               // 000000003080: 8652FF52 00FFFFFF
	v_mul_lo_u32 v7, v4, s82                                   // 000000003088: D2850007 0000A504
	v_add_u32_e32 v41, v6, v7                                  // 000000003090: 68520F06
	v_mul_lo_u32 v41, v41, s68                                 // 000000003094: D2850029 00008929
	v_readlane_b32 s82, v3, 4                                  // 00000000309C: D2890052 00010903
	s_and_b32 s82, s82, 0xffffff                               // 0000000030A4: 8652FF52 00FFFFFF
	v_mul_lo_u32 v6, v5, s82                                   // 0000000030AC: D2850006 0000A505
	v_readlane_b32 s82, v3, 5                                  // 0000000030B4: D2890052 00010B03
	s_and_b32 s82, s82, 0xffffff                               // 0000000030BC: 8652FF52 00FFFFFF
	v_mul_lo_u32 v7, v4, s82                                   // 0000000030C4: D2850007 0000A504
	v_add_u32_e32 v42, v6, v7                                  // 0000000030CC: 68540F06
	v_mul_lo_u32 v42, v42, s68                                 // 0000000030D0: D285002A 0000892A
	v_readlane_b32 s82, v3, 6                                  // 0000000030D8: D2890052 00010D03
	s_and_b32 s82, s82, 0xffffff                               // 0000000030E0: 8652FF52 00FFFFFF
	v_mul_lo_u32 v6, v5, s82                                   // 0000000030E8: D2850006 0000A505
	v_readlane_b32 s82, v3, 7                                  // 0000000030F0: D2890052 00010F03
	s_and_b32 s82, s82, 0xffffff                               // 0000000030F8: 8652FF52 00FFFFFF
	v_mul_lo_u32 v7, v4, s82                                   // 000000003100: D2850007 0000A504
	v_add_u32_e32 v43, v6, v7                                  // 000000003108: 68560F06
	v_mul_lo_u32 v43, v43, s68                                 // 00000000310C: D285002B 0000892B
	v_readlane_b32 s82, v3, 8                                  // 000000003114: D2890052 00011103
	s_and_b32 s82, s82, 0xffffff                               // 00000000311C: 8652FF52 00FFFFFF
	v_mul_lo_u32 v6, v5, s82                                   // 000000003124: D2850006 0000A505
	v_readlane_b32 s82, v3, 9                                  // 00000000312C: D2890052 00011303
	s_and_b32 s82, s82, 0xffffff                               // 000000003134: 8652FF52 00FFFFFF
	v_mul_lo_u32 v7, v4, s82                                   // 00000000313C: D2850007 0000A504
	v_add_u32_e32 v44, v6, v7                                  // 000000003144: 68580F06
	v_mul_lo_u32 v44, v44, s68                                 // 000000003148: D285002C 0000892C
	v_readlane_b32 s82, v3, 10                                 // 000000003150: D2890052 00011503
	s_and_b32 s82, s82, 0xffffff                               // 000000003158: 8652FF52 00FFFFFF
	v_mul_lo_u32 v6, v5, s82                                   // 000000003160: D2850006 0000A505
	v_readlane_b32 s82, v3, 11                                 // 000000003168: D2890052 00011703
	s_and_b32 s82, s82, 0xffffff                               // 000000003170: 8652FF52 00FFFFFF
	v_mul_lo_u32 v7, v4, s82                                   // 000000003178: D2850007 0000A504
	v_add_u32_e32 v45, v6, v7                                  // 000000003180: 685A0F06
	v_mul_lo_u32 v45, v45, s68                                 // 000000003184: D285002D 0000892D
	v_and_b32_e32 v4, 31, v0                                   // 00000000318C: 2608009F
	v_lshlrev_b32_e32 v4, 2, v4                                // 000000003190: 24080882
	v_add_u32_e32 v40, v40, v4                                 // 000000003194: 68500928
	v_add_u32_e32 v41, v41, v4                                 // 000000003198: 68520929
	v_add_u32_e32 v42, v42, v4                                 // 00000000319C: 6854092A
	v_add_u32_e32 v43, v43, v4                                 // 0000000031A0: 6856092B
	v_add_u32_e32 v44, v44, v4                                 // 0000000031A4: 6858092C
	v_add_u32_e32 v45, v45, v4                                 // 0000000031A8: 685A092D
	v_and_b32_e32 v28, 0xffffff, v28                           // 0000000031AC: 263838FF 00FFFFFF
	v_lshlrev_b32_e32 v28, 2, v28                              // 0000000031B4: 24383882
	v_and_b32_e32 v29, 0xffffff, v29                           // 0000000031B8: 263A3AFF 00FFFFFF
	v_lshlrev_b32_e32 v29, 2, v29                              // 0000000031C0: 243A3A82
	v_and_b32_e32 v30, 0xffffff, v30                           // 0000000031C4: 263C3CFF 00FFFFFF
	v_lshlrev_b32_e32 v30, 2, v30                              // 0000000031CC: 243C3C82
	s_lshl_b32 s3, s66, 2                                      // 0000000031D0: 8E038242
	buffer_load_dword v40, s[20:23], 0 offen lds               // 0000000031D4: E0511000 80050028
	s_add_u32 m0, 0x100, s48                                   // 0000000031DC: 807C30FF 00000100
	buffer_load_dword v41, s[20:23], 0 offen lds               // 0000000031E4: E0511000 80050029
	s_add_u32 m0, 0x200, s48                                   // 0000000031EC: 807C30FF 00000200
	buffer_load_dword v42, s[20:23], 0 offen lds               // 0000000031F4: E0511000 8005002A
	s_add_u32 m0, 0x300, s48                                   // 0000000031FC: 807C30FF 00000300
	buffer_load_dword v43, s[20:23], 0 offen lds               // 000000003204: E0511000 8005002B
	s_add_u32 m0, 0x400, s48                                   // 00000000320C: 807C30FF 00000400
	buffer_load_dword v44, s[20:23], 0 offen lds               // 000000003214: E0511000 8005002C
	s_add_u32 m0, 0x500, s48                                   // 00000000321C: 807C30FF 00000500
	buffer_load_dword v45, s[20:23], 0 offen lds               // 000000003224: E0511000 8005002D
	s_add_u32 m0, 0, s49                                       // 00000000322C: 807C3180
	s_add_u32 s20, s57, s20                                    // 000000003230: 80141439
	s_addc_u32 s21, 0, s21                                     // 000000003234: 82151580
	buffer_load_dword v31, v28, s[28:31], 0 offen              // 000000003238: E0501000 80071F1C
	buffer_load_dword v32, v29, s[28:31], 0 offen              // 000000003240: E0501000 8007201D
	buffer_load_dword v33, v30, s[28:31], 0 offen              // 000000003248: E0501000 8007211E
	s_add_u32 s28, s3, s28                                     // 000000003250: 801C1C03
	s_addc_u32 s29, 0, s29                                     // 000000003254: 821D1D80
	buffer_load_dword v40, s[20:23], 0 offen lds               // 000000003258: E0511000 80050028
	s_add_u32 m0, 0x100, s49                                   // 000000003260: 807C31FF 00000100
	buffer_load_dword v41, s[20:23], 0 offen lds               // 000000003268: E0511000 80050029
	s_add_u32 m0, 0x200, s49                                   // 000000003270: 807C31FF 00000200
	buffer_load_dword v42, s[20:23], 0 offen lds               // 000000003278: E0511000 8005002A
	s_add_u32 m0, 0x300, s49                                   // 000000003280: 807C31FF 00000300
	buffer_load_dword v43, s[20:23], 0 offen lds               // 000000003288: E0511000 8005002B
	s_add_u32 m0, 0x400, s49                                   // 000000003290: 807C31FF 00000400
	buffer_load_dword v44, s[20:23], 0 offen lds               // 000000003298: E0511000 8005002C
	s_add_u32 m0, 0x500, s49                                   // 0000000032A0: 807C31FF 00000500
	buffer_load_dword v45, s[20:23], 0 offen lds               // 0000000032A8: E0511000 8005002D
	s_add_u32 m0, 0, s48                                       // 0000000032B0: 807C3080
	s_add_u32 s20, s57, s20                                    // 0000000032B4: 80141439
	s_addc_u32 s21, 0, s21                                     // 0000000032B8: 82151580
	buffer_load_dword v34, v28, s[28:31], 0 offen              // 0000000032BC: E0501000 8007221C
	buffer_load_dword v35, v29, s[28:31], 0 offen              // 0000000032C4: E0501000 8007231D
	buffer_load_dword v36, v30, s[28:31], 0 offen              // 0000000032CC: E0501000 8007241E
	s_add_u32 s28, s3, s28                                     // 0000000032D4: 801C1C03
	s_addc_u32 s29, 0, s29                                     // 0000000032D8: 821D1D80
	buffer_load_dword v24, v22, s[32:35], 0 offen              // 0000000032DC: E0501000 80081816
	buffer_load_dwordx4 a[48:51], v46, s[24:27], 0 offen       // 0000000032E4: E05C1000 8086302E
	buffer_load_dwordx4 a[52:55], v46, s[24:27], 0 offen offset:1024// 0000000032EC: E05C1400 8086342E
	buffer_load_dwordx4 a[56:59], v47, s[24:27], 0 offen       // 0000000032F4: E05C1000 8086382F
	buffer_load_dwordx4 a[60:63], v47, s[24:27], 0 offen offset:1024// 0000000032FC: E05C1400 80863C2F
	buffer_load_dwordx4 a[64:67], v48, s[24:27], 0 offen       // 000000003304: E05C1000 80864030
	buffer_load_dwordx4 a[68:71], v48, s[24:27], 0 offen offset:1024// 00000000330C: E05C1400 80864430
	buffer_load_dwordx4 a[72:75], v49, s[24:27], 0 offen       // 000000003314: E05C1000 80864831
	buffer_load_dwordx4 a[76:79], v49, s[24:27], 0 offen offset:1024// 00000000331C: E05C1400 80864C31
	s_add_u32 s24, s58, s24                                    // 000000003324: 8018183A
	s_addc_u32 s25, 0, s25                                     // 000000003328: 82191980
	s_waitcnt vmcnt(21)                                        // 00000000332C: BF8C4F75
	s_barrier                                                  // 000000003330: BF8A0000
	ds_read_b128 a[0:3], v2                                    // 000000003334: DBFE0000 00000002
	ds_read_b128 a[4:7], v2 offset:64                          // 00000000333C: DBFE0040 04000002
	ds_read_b128 a[8:11], v2 offset:512                        // 000000003344: DBFE0200 08000002
	ds_read_b128 a[12:15], v2 offset:576                       // 00000000334C: DBFE0240 0C000002
	ds_read_b128 a[16:19], v2 offset:1024                      // 000000003354: DBFE0400 10000002
	ds_read_b128 a[20:23], v2 offset:1088                      // 00000000335C: DBFE0440 14000002
	s_cmp_lt_i32 s7, 2                                         // 000000003364: BF048207
	s_cbranch_scc0 label_11AA                                  // 000000003368: BF840F4C

000000000000336c <label_025B>:
	s_waitcnt vmcnt(6) lgkmcnt(0)                              // 00000000336C: BF8C0076
	s_barrier                                                  // 000000003370: BF8A0000
	v_mov_b32_e32 v37, v31                                     // 000000003374: 7E4A031F
	v_mov_b32_e32 v38, v32                                     // 000000003378: 7E4C0320
	v_mov_b32_e32 v39, v33                                     // 00000000337C: 7E4E0321
	v_mul_f32_dpp v4, v24, v37 row_newbcast:0 row_mask:0xf bank_mask:0xf// 000000003380: 0A084AFA FF015018
	v_mfma_f32_16x16x32_fp8_fp8 v[8:11], a[48:49], a[0:1], 0   // 000000003388: D3F30008 1A020130
	buffer_load_dword v27, v23, s[32:35], 0 offen              // 000000003390: E0501000 80081B17
	v_mfma_f32_16x16x32_fp8_fp8 v[8:11], a[50:51], a[2:3], v[8:11]// 000000003398: D3F30008 1C220532
	buffer_load_dwordx4 a[80:83], v46, s[84:87], 0 offen       // 0000000033A0: E05C1000 8095502E
	v_mfma_f32_16x16x32_fp8_fp8 v[8:11], a[52:53], a[4:5], v[8:11]// 0000000033A8: D3F30008 1C220934
	v_mfma_f32_16x16x32_fp8_fp8 v[8:11], a[54:55], a[6:7], v[8:11]// 0000000033B0: D3F30008 1C220D36
	v_mul_f32_dpp v6, v24, v38 row_newbcast:0 row_mask:0xf bank_mask:0xf// 0000000033B8: 0A0C4CFA FF015018
	v_mfma_f32_16x16x32_fp8_fp8 v[12:15], a[48:49], a[8:9], 0  // 0000000033C0: D3F3000C 1A021130
	v_mfma_f32_16x16x32_fp8_fp8 v[12:15], a[50:51], a[10:11], v[12:15]// 0000000033C8: D3F3000C 1C321532
	buffer_load_dwordx4 a[84:87], v46, s[84:87], 0 offen offset:1024// 0000000033D0: E05C1400 8095542E
	v_mfma_f32_16x16x32_fp8_fp8 v[12:15], a[52:53], a[12:13], v[12:15]// 0000000033D8: D3F3000C 1C321934
	v_mfma_f32_16x16x32_fp8_fp8 v[12:15], a[54:55], a[14:15], v[12:15]// 0000000033E0: D3F3000C 1C321D36
	v_fma_f32 v52, v8, v4, v52                                 // 0000000033E8: D1CB0034 04D20908
	v_fma_f32 v53, v9, v4, v53                                 // 0000000033F0: D1CB0035 04D60909
	v_fma_f32 v54, v10, v4, v54                                // 0000000033F8: D1CB0036 04DA090A
	v_fma_f32 v55, v11, v4, v55                                // 000000003400: D1CB0037 04DE090B
	v_mul_f32_dpp v4, v24, v39 row_newbcast:0 row_mask:0xf bank_mask:0xf// 000000003408: 0A084EFA FF015018
	v_mfma_f32_16x16x32_fp8_fp8 v[8:11], a[48:49], a[16:17], 0 // 000000003410: D3F30008 1A022130
	v_mfma_f32_16x16x32_fp8_fp8 v[8:11], a[50:51], a[18:19], v[8:11]// 000000003418: D3F30008 1C222532
	buffer_load_dwordx4 a[88:91], v47, s[84:87], 0 offen       // 000000003420: E05C1000 8095582F
	v_mfma_f32_16x16x32_fp8_fp8 v[8:11], a[52:53], a[20:21], v[8:11]// 000000003428: D3F30008 1C222934
	v_mfma_f32_16x16x32_fp8_fp8 v[8:11], a[54:55], a[22:23], v[8:11]// 000000003430: D3F30008 1C222D36
	v_fma_f32 v56, v12, v6, v56                                // 000000003438: D1CB0038 04E20D0C
	v_fma_f32 v57, v13, v6, v57                                // 000000003440: D1CB0039 04E60D0D
	v_fma_f32 v58, v14, v6, v58                                // 000000003448: D1CB003A 04EA0D0E
	v_fma_f32 v59, v15, v6, v59                                // 000000003450: D1CB003B 04EE0D0F
	s_waitcnt vmcnt(8)                                         // 000000003458: BF8C0F78
	v_mul_f32_dpp v6, v24, v37 row_newbcast:0 row_mask:0xf bank_mask:0xf// 00000000345C: 0A0C4AFA FF015018
	v_mfma_f32_16x16x32_fp8_fp8 v[12:15], a[56:57], a[0:1], 0  // 000000003464: D3F3000C 1A020138
	v_mfma_f32_16x16x32_fp8_fp8 v[12:15], a[58:59], a[2:3], v[12:15]// 00000000346C: D3F3000C 1C32053A
	buffer_load_dwordx4 a[92:95], v47, s[84:87], 0 offen offset:1024// 000000003474: E05C1400 80955C2F
	v_mfma_f32_16x16x32_fp8_fp8 v[12:15], a[60:61], a[4:5], v[12:15]// 00000000347C: D3F3000C 1C32093C
	v_mfma_f32_16x16x32_fp8_fp8 v[12:15], a[62:63], a[6:7], v[12:15]// 000000003484: D3F3000C 1C320D3E
	v_fma_f32 v60, v8, v4, v60                                 // 00000000348C: D1CB003C 04F20908
	v_fma_f32 v61, v9, v4, v61                                 // 000000003494: D1CB003D 04F60909
	v_fma_f32 v62, v10, v4, v62                                // 00000000349C: D1CB003E 04FA090A
	v_fma_f32 v63, v11, v4, v63                                // 0000000034A4: D1CB003F 04FE090B
	v_mul_f32_dpp v4, v24, v38 row_newbcast:0 row_mask:0xf bank_mask:0xf// 0000000034AC: 0A084CFA FF015018
	v_mfma_f32_16x16x32_fp8_fp8 v[8:11], a[56:57], a[8:9], 0   // 0000000034B4: D3F30008 1A021138
	v_mfma_f32_16x16x32_fp8_fp8 v[8:11], a[58:59], a[10:11], v[8:11]// 0000000034BC: D3F30008 1C22153A
	buffer_load_dwordx4 a[96:99], v48, s[84:87], 0 offen       // 0000000034C4: E05C1000 80956030
	v_mfma_f32_16x16x32_fp8_fp8 v[8:11], a[60:61], a[12:13], v[8:11]// 0000000034CC: D3F30008 1C22193C
	v_mfma_f32_16x16x32_fp8_fp8 v[8:11], a[62:63], a[14:15], v[8:11]// 0000000034D4: D3F30008 1C221D3E
	v_fma_f32 v64, v12, v6, v64                                // 0000000034DC: D1CB0040 05020D0C
	v_fma_f32 v65, v13, v6, v65                                // 0000000034E4: D1CB0041 05060D0D
	v_fma_f32 v66, v14, v6, v66                                // 0000000034EC: D1CB0042 050A0D0E
	v_fma_f32 v67, v15, v6, v67                                // 0000000034F4: D1CB0043 050E0D0F
	v_mul_f32_dpp v6, v24, v39 row_newbcast:0 row_mask:0xf bank_mask:0xf// 0000000034FC: 0A0C4EFA FF015018
	v_mfma_f32_16x16x32_fp8_fp8 v[12:15], a[56:57], a[16:17], 0// 000000003504: D3F3000C 1A022138
	v_mfma_f32_16x16x32_fp8_fp8 v[12:15], a[58:59], a[18:19], v[12:15]// 00000000350C: D3F3000C 1C32253A
	buffer_load_dwordx4 a[100:103], v48, s[84:87], 0 offen offset:1024// 000000003514: E05C1400 80956430
	v_mfma_f32_16x16x32_fp8_fp8 v[12:15], a[60:61], a[20:21], v[12:15]// 00000000351C: D3F3000C 1C32293C
	v_mfma_f32_16x16x32_fp8_fp8 v[12:15], a[62:63], a[22:23], v[12:15]// 000000003524: D3F3000C 1C322D3E
	v_fma_f32 v68, v8, v4, v68                                 // 00000000352C: D1CB0044 05120908
	v_fma_f32 v69, v9, v4, v69                                 // 000000003534: D1CB0045 05160909
	v_fma_f32 v70, v10, v4, v70                                // 00000000353C: D1CB0046 051A090A
	v_fma_f32 v71, v11, v4, v71                                // 000000003544: D1CB0047 051E090B
	s_waitcnt vmcnt(9)                                         // 00000000354C: BF8C0F79
	v_mul_f32_dpp v4, v24, v37 row_newbcast:1 row_mask:0xf bank_mask:0xf// 000000003550: 0A084AFA FF015118
	v_mfma_f32_16x16x32_fp8_fp8 v[8:11], a[64:65], a[0:1], 0   // 000000003558: D3F30008 1A020140
	v_mfma_f32_16x16x32_fp8_fp8 v[8:11], a[66:67], a[2:3], v[8:11]// 000000003560: D3F30008 1C220542
	buffer_load_dwordx4 a[104:107], v49, s[84:87], 0 offen     // 000000003568: E05C1000 80956831
	v_mfma_f32_16x16x32_fp8_fp8 v[8:11], a[68:69], a[4:5], v[8:11]// 000000003570: D3F30008 1C220944
	v_mfma_f32_16x16x32_fp8_fp8 v[8:11], a[70:71], a[6:7], v[8:11]// 000000003578: D3F30008 1C220D46
	v_fma_f32 v72, v12, v6, v72                                // 000000003580: D1CB0048 05220D0C
	v_fma_f32 v73, v13, v6, v73                                // 000000003588: D1CB0049 05260D0D
	v_fma_f32 v74, v14, v6, v74                                // 000000003590: D1CB004A 052A0D0E
	v_fma_f32 v75, v15, v6, v75                                // 000000003598: D1CB004B 052E0D0F
	v_mul_f32_dpp v6, v24, v38 row_newbcast:1 row_mask:0xf bank_mask:0xf// 0000000035A0: 0A0C4CFA FF015118
	v_mfma_f32_16x16x32_fp8_fp8 v[12:15], a[64:65], a[8:9], 0  // 0000000035A8: D3F3000C 1A021140
	v_mfma_f32_16x16x32_fp8_fp8 v[12:15], a[66:67], a[10:11], v[12:15]// 0000000035B0: D3F3000C 1C321542
	buffer_load_dwordx4 a[108:111], v49, s[84:87], 0 offen offset:1024// 0000000035B8: E05C1400 80956C31
	buffer_load_dword v40, s[20:23], 0 offen lds               // 0000000035C0: E0511000 80050028
	s_add_u32 m0, 0x100, s48                                   // 0000000035C8: 807C30FF 00000100
	v_mfma_f32_16x16x32_fp8_fp8 v[12:15], a[68:69], a[12:13], v[12:15]// 0000000035D0: D3F3000C 1C321944
	v_mfma_f32_16x16x32_fp8_fp8 v[12:15], a[70:71], a[14:15], v[12:15]// 0000000035D8: D3F3000C 1C321D46
	buffer_load_dword v41, s[20:23], 0 offen lds               // 0000000035E0: E0511000 80050029
	s_add_u32 m0, 0x200, s48                                   // 0000000035E8: 807C30FF 00000200
	v_fma_f32 v76, v8, v4, v76                                 // 0000000035F0: D1CB004C 05320908
	v_fma_f32 v77, v9, v4, v77                                 // 0000000035F8: D1CB004D 05360909
	v_fma_f32 v78, v10, v4, v78                                // 000000003600: D1CB004E 053A090A
	v_fma_f32 v79, v11, v4, v79                                // 000000003608: D1CB004F 053E090B
	v_mul_f32_dpp v4, v24, v39 row_newbcast:1 row_mask:0xf bank_mask:0xf// 000000003610: 0A084EFA FF015118
	v_mfma_f32_16x16x32_fp8_fp8 v[8:11], a[64:65], a[16:17], 0 // 000000003618: D3F30008 1A022140
	v_mfma_f32_16x16x32_fp8_fp8 v[8:11], a[66:67], a[18:19], v[8:11]// 000000003620: D3F30008 1C222542
	buffer_load_dword v42, s[20:23], 0 offen lds               // 000000003628: E0511000 8005002A
	s_add_u32 m0, 0x300, s48                                   // 000000003630: 807C30FF 00000300
	v_mfma_f32_16x16x32_fp8_fp8 v[8:11], a[68:69], a[20:21], v[8:11]// 000000003638: D3F30008 1C222944
	v_mfma_f32_16x16x32_fp8_fp8 v[8:11], a[70:71], a[22:23], v[8:11]// 000000003640: D3F30008 1C222D46
	buffer_load_dword v43, s[20:23], 0 offen lds               // 000000003648: E0511000 8005002B
	s_add_u32 m0, 0x400, s48                                   // 000000003650: 807C30FF 00000400
	v_fma_f32 v80, v12, v6, v80                                // 000000003658: D1CB0050 05420D0C
	v_fma_f32 v81, v13, v6, v81                                // 000000003660: D1CB0051 05460D0D
	v_fma_f32 v82, v14, v6, v82                                // 000000003668: D1CB0052 054A0D0E
	v_fma_f32 v83, v15, v6, v83                                // 000000003670: D1CB0053 054E0D0F
	s_waitcnt vmcnt(13)                                        // 000000003678: BF8C0F7D
	v_mul_f32_dpp v6, v24, v37 row_newbcast:1 row_mask:0xf bank_mask:0xf// 00000000367C: 0A0C4AFA FF015118
	v_mfma_f32_16x16x32_fp8_fp8 v[12:15], a[72:73], a[0:1], 0  // 000000003684: D3F3000C 1A020148
	v_mfma_f32_16x16x32_fp8_fp8 v[12:15], a[74:75], a[2:3], v[12:15]// 00000000368C: D3F3000C 1C32054A
	buffer_load_dword v44, s[20:23], 0 offen lds               // 000000003694: E0511000 8005002C
	s_add_u32 m0, 0x500, s48                                   // 00000000369C: 807C30FF 00000500
	v_mfma_f32_16x16x32_fp8_fp8 v[12:15], a[76:77], a[4:5], v[12:15]// 0000000036A4: D3F3000C 1C32094C
	v_mfma_f32_16x16x32_fp8_fp8 v[12:15], a[78:79], a[6:7], v[12:15]// 0000000036AC: D3F3000C 1C320D4E
	buffer_load_dword v45, s[20:23], 0 offen lds               // 0000000036B4: E0511000 8005002D
	s_add_u32 m0, 0, s49                                       // 0000000036BC: 807C3180
	v_fma_f32 v84, v8, v4, v84                                 // 0000000036C0: D1CB0054 05520908
	v_fma_f32 v85, v9, v4, v85                                 // 0000000036C8: D1CB0055 05560909
	v_fma_f32 v86, v10, v4, v86                                // 0000000036D0: D1CB0056 055A090A
	v_fma_f32 v87, v11, v4, v87                                // 0000000036D8: D1CB0057 055E090B
	v_mul_f32_dpp v4, v24, v38 row_newbcast:1 row_mask:0xf bank_mask:0xf// 0000000036E0: 0A084CFA FF015118
	v_mfma_f32_16x16x32_fp8_fp8 v[8:11], a[72:73], a[8:9], 0   // 0000000036E8: D3F30008 1A021148
	v_mfma_f32_16x16x32_fp8_fp8 v[8:11], a[74:75], a[10:11], v[8:11]// 0000000036F0: D3F30008 1C22154A
	buffer_load_dword v31, v28, s[28:31], 0 offen              // 0000000036F8: E0501000 80071F1C
	v_mfma_f32_16x16x32_fp8_fp8 v[8:11], a[76:77], a[12:13], v[8:11]// 000000003700: D3F30008 1C22194C
	v_mfma_f32_16x16x32_fp8_fp8 v[8:11], a[78:79], a[14:15], v[8:11]// 000000003708: D3F30008 1C221D4E
	buffer_load_dword v32, v29, s[28:31], 0 offen              // 000000003710: E0501000 8007201D
	v_fma_f32 v88, v12, v6, v88                                // 000000003718: D1CB0058 05620D0C
	v_fma_f32 v89, v13, v6, v89                                // 000000003720: D1CB0059 05660D0D
	v_fma_f32 v90, v14, v6, v90                                // 000000003728: D1CB005A 056A0D0E
	v_fma_f32 v91, v15, v6, v91                                // 000000003730: D1CB005B 056E0D0F
	v_mul_f32_dpp v6, v24, v39 row_newbcast:1 row_mask:0xf bank_mask:0xf// 000000003738: 0A0C4EFA FF015118
	v_mfma_f32_16x16x32_fp8_fp8 v[12:15], a[72:73], a[16:17], 0// 000000003740: D3F3000C 1A022148
	v_mfma_f32_16x16x32_fp8_fp8 v[12:15], a[74:75], a[18:19], v[12:15]// 000000003748: D3F3000C 1C32254A
	buffer_load_dword v33, v30, s[28:31], 0 offen              // 000000003750: E0501000 8007211E
	s_add_u32 s60, 0x80, s80                                   // 000000003758: 803C50FF 00000080
	s_cmp_lt_u32 s60, s81                                      // 000000003760: BF0A513C
	s_cselect_b32 s83, s83, 0                                  // 000000003764: 85538053
	s_cselect_b32 s4, s4, 0                                    // 000000003768: 85048004
	v_mfma_f32_16x16x32_fp8_fp8 v[12:15], a[76:77], a[20:21], v[12:15]// 00000000376C: D3F3000C 1C32294C
	s_add_u32 s32, s4, s32                                     // 000000003774: 80202004
	s_addc_u32 s33, 0, s33                                     // 000000003778: 82212180
	v_mfma_f32_16x16x32_fp8_fp8 v[12:15], a[78:79], a[22:23], v[12:15]// 00000000377C: D3F3000C 1C322D4E
	v_fma_f32 v92, v8, v4, v92                                 // 000000003784: D1CB005C 05720908
	v_fma_f32 v93, v9, v4, v93                                 // 00000000378C: D1CB005D 05760909
	v_fma_f32 v94, v10, v4, v94                                // 000000003794: D1CB005E 057A090A
	v_fma_f32 v95, v11, v4, v95                                // 00000000379C: D1CB005F 057E090B
	v_fma_f32 v96, v12, v6, v96                                // 0000000037A4: D1CB0060 05820D0C
	v_fma_f32 v97, v13, v6, v97                                // 0000000037AC: D1CB0061 05860D0D
	v_fma_f32 v98, v14, v6, v98                                // 0000000037B4: D1CB0062 058A0D0E
	v_fma_f32 v99, v15, v6, v99                                // 0000000037BC: D1CB0063 058E0D0F
	s_waitcnt vmcnt(9)                                         // 0000000037C4: BF8C0F79
	v_mul_f32_dpp v4, v27, v37 row_newbcast:0 row_mask:0xf bank_mask:0xf// 0000000037C8: 0A084AFA FF01501B
	v_mfma_f32_16x16x32_fp8_fp8 v[8:11], a[80:81], a[0:1], 0   // 0000000037D0: D3F30008 1A020150
	buffer_load_dword v24, v22, s[32:35], 0 offen              // 0000000037D8: E0501000 80081816
	v_mfma_f32_16x16x32_fp8_fp8 v[8:11], a[82:83], a[2:3], v[8:11]// 0000000037E0: D3F30008 1C220552
	buffer_load_dwordx4 a[48:51], v46, s[24:27], 0 offen       // 0000000037E8: E05C1000 8086302E
	v_mfma_f32_16x16x32_fp8_fp8 v[8:11], a[84:85], a[4:5], v[8:11]// 0000000037F0: D3F30008 1C220954
	v_mfma_f32_16x16x32_fp8_fp8 v[8:11], a[86:87], a[6:7], v[8:11]// 0000000037F8: D3F30008 1C220D56
	ds_read_b128 a[24:27], v2 offset:6272                      // 000000003800: DBFE1880 18000002
	ds_read_b128 a[28:31], v2 offset:6336                      // 000000003808: DBFE18C0 1C000002
	v_mfma_f32_16x16x32_fp8_fp8 v[12:15], a[88:89], a[0:1], 0  // 000000003810: D3F3000C 1A020158
	v_mfma_f32_16x16x32_fp8_fp8 v[12:15], a[90:91], a[2:3], v[12:15]// 000000003818: D3F3000C 1C32055A
	buffer_load_dwordx4 a[52:55], v46, s[24:27], 0 offen offset:1024// 000000003820: E05C1400 8086342E
	v_mfma_f32_16x16x32_fp8_fp8 v[12:15], a[92:93], a[4:5], v[12:15]// 000000003828: D3F3000C 1C32095C
	v_mfma_f32_16x16x32_fp8_fp8 v[12:15], a[94:95], a[6:7], v[12:15]// 000000003830: D3F3000C 1C320D5E
	ds_read_b128 a[32:35], v2 offset:6784                      // 000000003838: DBFE1A80 20000002
	ds_read_b128 a[36:39], v2 offset:6848                      // 000000003840: DBFE1AC0 24000002
	v_fma_f32 v100, v8, v4, v100                               // 000000003848: D1CB0064 05920908
	v_fma_f32 v101, v9, v4, v101                               // 000000003850: D1CB0065 05960909
	v_fma_f32 v102, v10, v4, v102                              // 000000003858: D1CB0066 059A090A
	v_fma_f32 v103, v11, v4, v103                              // 000000003860: D1CB0067 059E090B
	v_mul_f32_dpp v6, v27, v37 row_newbcast:1 row_mask:0xf bank_mask:0xf// 000000003868: 0A0C4AFA FF01511B
	v_mfma_f32_16x16x32_fp8_fp8 v[8:11], a[96:97], a[0:1], 0   // 000000003870: D3F30008 1A020160
	v_mfma_f32_16x16x32_fp8_fp8 v[8:11], a[98:99], a[2:3], v[8:11]// 000000003878: D3F30008 1C220562
	buffer_load_dwordx4 a[56:59], v47, s[24:27], 0 offen       // 000000003880: E05C1000 8086382F
	v_mfma_f32_16x16x32_fp8_fp8 v[8:11], a[100:101], a[4:5], v[8:11]// 000000003888: D3F30008 1C220964
	v_mfma_f32_16x16x32_fp8_fp8 v[8:11], a[102:103], a[6:7], v[8:11]// 000000003890: D3F30008 1C220D66
	ds_read_b128 a[40:43], v2 offset:7296                      // 000000003898: DBFE1C80 28000002
	ds_read_b128 a[44:47], v2 offset:7360                      // 0000000038A0: DBFE1CC0 2C000002
	v_fma_f32 v112, v12, v4, v112                              // 0000000038A8: D1CB0070 05C2090C
	v_fma_f32 v113, v13, v4, v113                              // 0000000038B0: D1CB0071 05C6090D
	v_fma_f32 v114, v14, v4, v114                              // 0000000038B8: D1CB0072 05CA090E
	v_fma_f32 v115, v15, v4, v115                              // 0000000038C0: D1CB0073 05CE090F
	v_mfma_f32_16x16x32_fp8_fp8 v[12:15], a[104:105], a[0:1], 0// 0000000038C8: D3F3000C 1A020168
	v_mfma_f32_16x16x32_fp8_fp8 v[12:15], a[106:107], a[2:3], v[12:15]// 0000000038D0: D3F3000C 1C32056A
	buffer_load_dwordx4 a[60:63], v47, s[24:27], 0 offen offset:1024// 0000000038D8: E05C1400 80863C2F
	v_mfma_f32_16x16x32_fp8_fp8 v[12:15], a[108:109], a[4:5], v[12:15]// 0000000038E0: D3F3000C 1C32096C
	v_mfma_f32_16x16x32_fp8_fp8 v[12:15], a[110:111], a[6:7], v[12:15]// 0000000038E8: D3F3000C 1C320D6E
	v_fma_f32 v124, v8, v6, v124                               // 0000000038F0: D1CB007C 05F20D08
	v_fma_f32 v125, v9, v6, v125                               // 0000000038F8: D1CB007D 05F60D09
	v_fma_f32 v126, v10, v6, v126                              // 000000003900: D1CB007E 05FA0D0A
	v_fma_f32 v127, v11, v6, v127                              // 000000003908: D1CB007F 05FE0D0B
	v_mul_f32_dpp v4, v27, v38 row_newbcast:0 row_mask:0xf bank_mask:0xf// 000000003910: 0A084CFA FF01501B
	v_mfma_f32_16x16x32_fp8_fp8 v[8:11], a[80:81], a[8:9], 0   // 000000003918: D3F30008 1A021150
	v_mfma_f32_16x16x32_fp8_fp8 v[8:11], a[82:83], a[10:11], v[8:11]// 000000003920: D3F30008 1C221552
	buffer_load_dwordx4 a[64:67], v48, s[24:27], 0 offen       // 000000003928: E05C1000 80864030
	v_mfma_f32_16x16x32_fp8_fp8 v[8:11], a[84:85], a[12:13], v[8:11]// 000000003930: D3F30008 1C221954
	v_mfma_f32_16x16x32_fp8_fp8 v[8:11], a[86:87], a[14:15], v[8:11]// 000000003938: D3F30008 1C221D56
	v_fma_f32 v136, v12, v6, v136                              // 000000003940: D1CB0088 06220D0C
	v_fma_f32 v137, v13, v6, v137                              // 000000003948: D1CB0089 06260D0D
	v_fma_f32 v138, v14, v6, v138                              // 000000003950: D1CB008A 062A0D0E
	v_fma_f32 v139, v15, v6, v139                              // 000000003958: D1CB008B 062E0D0F
	v_mfma_f32_16x16x32_fp8_fp8 v[12:15], a[88:89], a[8:9], 0  // 000000003960: D3F3000C 1A021158
	v_mfma_f32_16x16x32_fp8_fp8 v[12:15], a[90:91], a[10:11], v[12:15]// 000000003968: D3F3000C 1C32155A
	buffer_load_dwordx4 a[68:71], v48, s[24:27], 0 offen offset:1024// 000000003970: E05C1400 80864430
	v_mfma_f32_16x16x32_fp8_fp8 v[12:15], a[92:93], a[12:13], v[12:15]// 000000003978: D3F3000C 1C32195C
	v_mfma_f32_16x16x32_fp8_fp8 v[12:15], a[94:95], a[14:15], v[12:15]// 000000003980: D3F3000C 1C321D5E
	v_fma_f32 v104, v8, v4, v104                               // 000000003988: D1CB0068 05A20908
	v_fma_f32 v105, v9, v4, v105                               // 000000003990: D1CB0069 05A60909
	v_fma_f32 v106, v10, v4, v106                              // 000000003998: D1CB006A 05AA090A
	v_fma_f32 v107, v11, v4, v107                              // 0000000039A0: D1CB006B 05AE090B
	v_mul_f32_dpp v6, v27, v38 row_newbcast:1 row_mask:0xf bank_mask:0xf// 0000000039A8: 0A0C4CFA FF01511B
	v_mfma_f32_16x16x32_fp8_fp8 v[8:11], a[96:97], a[8:9], 0   // 0000000039B0: D3F30008 1A021160
	v_mfma_f32_16x16x32_fp8_fp8 v[8:11], a[98:99], a[10:11], v[8:11]// 0000000039B8: D3F30008 1C221562
	buffer_load_dwordx4 a[72:75], v49, s[24:27], 0 offen       // 0000000039C0: E05C1000 80864831
	v_mfma_f32_16x16x32_fp8_fp8 v[8:11], a[100:101], a[12:13], v[8:11]// 0000000039C8: D3F30008 1C221964
	v_mfma_f32_16x16x32_fp8_fp8 v[8:11], a[102:103], a[14:15], v[8:11]// 0000000039D0: D3F30008 1C221D66
	v_fma_f32 v116, v12, v4, v116                              // 0000000039D8: D1CB0074 05D2090C
	v_fma_f32 v117, v13, v4, v117                              // 0000000039E0: D1CB0075 05D6090D
	v_fma_f32 v118, v14, v4, v118                              // 0000000039E8: D1CB0076 05DA090E
	v_fma_f32 v119, v15, v4, v119                              // 0000000039F0: D1CB0077 05DE090F
	v_mfma_f32_16x16x32_fp8_fp8 v[12:15], a[104:105], a[8:9], 0// 0000000039F8: D3F3000C 1A021168
	v_mfma_f32_16x16x32_fp8_fp8 v[12:15], a[106:107], a[10:11], v[12:15]// 000000003A00: D3F3000C 1C32156A
	buffer_load_dwordx4 a[76:79], v49, s[24:27], 0 offen offset:1024// 000000003A08: E05C1400 80864C31
	v_mfma_f32_16x16x32_fp8_fp8 v[12:15], a[108:109], a[12:13], v[12:15]// 000000003A10: D3F3000C 1C32196C
	v_mfma_f32_16x16x32_fp8_fp8 v[12:15], a[110:111], a[14:15], v[12:15]// 000000003A18: D3F3000C 1C321D6E
	v_fma_f32 v128, v8, v6, v128                               // 000000003A20: D1CB0080 06020D08
	v_fma_f32 v129, v9, v6, v129                               // 000000003A28: D1CB0081 06060D09
	v_fma_f32 v130, v10, v6, v130                              // 000000003A30: D1CB0082 060A0D0A
	v_fma_f32 v131, v11, v6, v131                              // 000000003A38: D1CB0083 060E0D0B
	v_mul_f32_dpp v4, v27, v39 row_newbcast:0 row_mask:0xf bank_mask:0xf// 000000003A40: 0A084EFA FF01501B
	v_mfma_f32_16x16x32_fp8_fp8 v[8:11], a[80:81], a[16:17], 0 // 000000003A48: D3F30008 1A022150
	v_mfma_f32_16x16x32_fp8_fp8 v[8:11], a[82:83], a[18:19], v[8:11]// 000000003A50: D3F30008 1C222552
	v_mfma_f32_16x16x32_fp8_fp8 v[8:11], a[84:85], a[20:21], v[8:11]// 000000003A58: D3F30008 1C222954
	v_mfma_f32_16x16x32_fp8_fp8 v[8:11], a[86:87], a[22:23], v[8:11]// 000000003A60: D3F30008 1C222D56
	v_fma_f32 v140, v12, v6, v140                              // 000000003A68: D1CB008C 06320D0C
	v_fma_f32 v141, v13, v6, v141                              // 000000003A70: D1CB008D 06360D0D
	v_fma_f32 v142, v14, v6, v142                              // 000000003A78: D1CB008E 063A0D0E
	v_fma_f32 v143, v15, v6, v143                              // 000000003A80: D1CB008F 063E0D0F
	v_mfma_f32_16x16x32_fp8_fp8 v[12:15], a[88:89], a[16:17], 0// 000000003A88: D3F3000C 1A022158
	v_mfma_f32_16x16x32_fp8_fp8 v[12:15], a[90:91], a[18:19], v[12:15]// 000000003A90: D3F3000C 1C32255A
	v_mfma_f32_16x16x32_fp8_fp8 v[12:15], a[92:93], a[20:21], v[12:15]// 000000003A98: D3F3000C 1C32295C
	v_mfma_f32_16x16x32_fp8_fp8 v[12:15], a[94:95], a[22:23], v[12:15]// 000000003AA0: D3F3000C 1C322D5E
	v_fma_f32 v108, v8, v4, v108                               // 000000003AA8: D1CB006C 05B20908
	v_fma_f32 v109, v9, v4, v109                               // 000000003AB0: D1CB006D 05B60909
	v_fma_f32 v110, v10, v4, v110                              // 000000003AB8: D1CB006E 05BA090A
	v_fma_f32 v111, v11, v4, v111                              // 000000003AC0: D1CB006F 05BE090B
	v_mul_f32_dpp v6, v27, v39 row_newbcast:1 row_mask:0xf bank_mask:0xf// 000000003AC8: 0A0C4EFA FF01511B
	v_mfma_f32_16x16x32_fp8_fp8 v[8:11], a[96:97], a[16:17], 0 // 000000003AD0: D3F30008 1A022160
	v_mfma_f32_16x16x32_fp8_fp8 v[8:11], a[98:99], a[18:19], v[8:11]// 000000003AD8: D3F30008 1C222562
	v_mfma_f32_16x16x32_fp8_fp8 v[8:11], a[100:101], a[20:21], v[8:11]// 000000003AE0: D3F30008 1C222964
	s_add_u32 s60, 0x180, s80                                  // 000000003AE8: 803C50FF 00000180
	s_cmp_lt_u32 s60, s81                                      // 000000003AF0: BF0A513C
	s_cselect_b32 s57, s57, 0                                  // 000000003AF4: 85398039
	s_cselect_b32 s3, s3, 0                                    // 000000003AF8: 85038003
	v_mfma_f32_16x16x32_fp8_fp8 v[8:11], a[102:103], a[22:23], v[8:11]// 000000003AFC: D3F30008 1C222D66
	s_add_u32 s60, 0x100, s80                                  // 000000003B04: 803C50FF 00000100
	s_cmp_lt_u32 s60, s81                                      // 000000003B0C: BF0A513C
	s_cselect_b32 s58, s58, 0                                  // 000000003B10: 853A803A
	v_fma_f32 v120, v12, v4, v120                              // 000000003B14: D1CB0078 05E2090C
	v_fma_f32 v121, v13, v4, v121                              // 000000003B1C: D1CB0079 05E6090D
	v_fma_f32 v122, v14, v4, v122                              // 000000003B24: D1CB007A 05EA090E
	v_fma_f32 v123, v15, v4, v123                              // 000000003B2C: D1CB007B 05EE090F
	v_mfma_f32_16x16x32_fp8_fp8 v[12:15], a[104:105], a[16:17], 0// 000000003B34: D3F3000C 1A022168
	s_add_u32 s24, s58, s24                                    // 000000003B3C: 8018183A
	s_addc_u32 s25, 0, s25                                     // 000000003B40: 82191980
	v_mfma_f32_16x16x32_fp8_fp8 v[12:15], a[106:107], a[18:19], v[12:15]// 000000003B44: D3F3000C 1C32256A
	s_add_u32 s20, s57, s20                                    // 000000003B4C: 80141439
	s_addc_u32 s21, 0, s21                                     // 000000003B50: 82151580
	s_add_u32 s28, s3, s28                                     // 000000003B54: 801C1C03
	s_addc_u32 s29, 0, s29                                     // 000000003B58: 821D1D80
	v_mfma_f32_16x16x32_fp8_fp8 v[12:15], a[108:109], a[20:21], v[12:15]// 000000003B5C: D3F3000C 1C32296C
	s_add_u32 s84, s83, s84                                    // 000000003B64: 80545453
	s_addc_u32 s85, 0, s85                                     // 000000003B68: 82555580
	v_mfma_f32_16x16x32_fp8_fp8 v[12:15], a[110:111], a[22:23], v[12:15]// 000000003B6C: D3F3000C 1C322D6E
	v_fma_f32 v132, v8, v6, v132                               // 000000003B74: D1CB0084 06120D08
	v_fma_f32 v133, v9, v6, v133                               // 000000003B7C: D1CB0085 06160D09
	v_fma_f32 v134, v10, v6, v134                              // 000000003B84: D1CB0086 061A0D0A
	v_fma_f32 v135, v11, v6, v135                              // 000000003B8C: D1CB0087 061E0D0B
	v_fma_f32 v144, v12, v6, v144                              // 000000003B94: D1CB0090 06420D0C
	v_fma_f32 v145, v13, v6, v145                              // 000000003B9C: D1CB0091 06460D0D
	v_fma_f32 v146, v14, v6, v146                              // 000000003BA4: D1CB0092 064A0D0E
	v_fma_f32 v147, v15, v6, v147                              // 000000003BAC: D1CB0093 064E0D0F
	s_addk_i32 s80, 0x80                                       // 000000003BB4: B7500080
	s_cmp_lt_i32 s80, s81                                      // 000000003BB8: BF045150
	s_cbranch_scc0 label_0686                                  // 000000003BBC: BF840216
	s_waitcnt vmcnt(6) lgkmcnt(0)                              // 000000003BC0: BF8C0076
	s_barrier                                                  // 000000003BC4: BF8A0000
	v_mov_b32_e32 v37, v34                                     // 000000003BC8: 7E4A0322
	v_mov_b32_e32 v38, v35                                     // 000000003BCC: 7E4C0323
	v_mov_b32_e32 v39, v36                                     // 000000003BD0: 7E4E0324
	v_mul_f32_dpp v4, v24, v37 row_newbcast:0 row_mask:0xf bank_mask:0xf// 000000003BD4: 0A084AFA FF015018
	v_mfma_f32_16x16x32_fp8_fp8 v[8:11], a[48:49], a[24:25], 0 // 000000003BDC: D3F30008 1A023130
	buffer_load_dword v27, v23, s[32:35], 0 offen              // 000000003BE4: E0501000 80081B17
	v_mfma_f32_16x16x32_fp8_fp8 v[8:11], a[50:51], a[26:27], v[8:11]// 000000003BEC: D3F30008 1C223532
	buffer_load_dwordx4 a[80:83], v46, s[84:87], 0 offen       // 000000003BF4: E05C1000 8095502E
	v_mfma_f32_16x16x32_fp8_fp8 v[8:11], a[52:53], a[28:29], v[8:11]// 000000003BFC: D3F30008 1C223934
	v_mfma_f32_16x16x32_fp8_fp8 v[8:11], a[54:55], a[30:31], v[8:11]// 000000003C04: D3F30008 1C223D36
	v_mul_f32_dpp v6, v24, v38 row_newbcast:0 row_mask:0xf bank_mask:0xf// 000000003C0C: 0A0C4CFA FF015018
	v_mfma_f32_16x16x32_fp8_fp8 v[12:15], a[48:49], a[32:33], 0// 000000003C14: D3F3000C 1A024130
	v_mfma_f32_16x16x32_fp8_fp8 v[12:15], a[50:51], a[34:35], v[12:15]// 000000003C1C: D3F3000C 1C324532
	buffer_load_dwordx4 a[84:87], v46, s[84:87], 0 offen offset:1024// 000000003C24: E05C1400 8095542E
	v_mfma_f32_16x16x32_fp8_fp8 v[12:15], a[52:53], a[36:37], v[12:15]// 000000003C2C: D3F3000C 1C324934
	v_mfma_f32_16x16x32_fp8_fp8 v[12:15], a[54:55], a[38:39], v[12:15]// 000000003C34: D3F3000C 1C324D36
	v_fma_f32 v52, v8, v4, v52                                 // 000000003C3C: D1CB0034 04D20908
	v_fma_f32 v53, v9, v4, v53                                 // 000000003C44: D1CB0035 04D60909
	v_fma_f32 v54, v10, v4, v54                                // 000000003C4C: D1CB0036 04DA090A
	v_fma_f32 v55, v11, v4, v55                                // 000000003C54: D1CB0037 04DE090B
	v_mul_f32_dpp v4, v24, v39 row_newbcast:0 row_mask:0xf bank_mask:0xf// 000000003C5C: 0A084EFA FF015018
	v_mfma_f32_16x16x32_fp8_fp8 v[8:11], a[48:49], a[40:41], 0 // 000000003C64: D3F30008 1A025130
	v_mfma_f32_16x16x32_fp8_fp8 v[8:11], a[50:51], a[42:43], v[8:11]// 000000003C6C: D3F30008 1C225532
	buffer_load_dwordx4 a[88:91], v47, s[84:87], 0 offen       // 000000003C74: E05C1000 8095582F
	v_mfma_f32_16x16x32_fp8_fp8 v[8:11], a[52:53], a[44:45], v[8:11]// 000000003C7C: D3F30008 1C225934
	v_mfma_f32_16x16x32_fp8_fp8 v[8:11], a[54:55], a[46:47], v[8:11]// 000000003C84: D3F30008 1C225D36
	v_fma_f32 v56, v12, v6, v56                                // 000000003C8C: D1CB0038 04E20D0C
	v_fma_f32 v57, v13, v6, v57                                // 000000003C94: D1CB0039 04E60D0D
	v_fma_f32 v58, v14, v6, v58                                // 000000003C9C: D1CB003A 04EA0D0E
	v_fma_f32 v59, v15, v6, v59                                // 000000003CA4: D1CB003B 04EE0D0F
	s_waitcnt vmcnt(8)                                         // 000000003CAC: BF8C0F78
	v_mul_f32_dpp v6, v24, v37 row_newbcast:0 row_mask:0xf bank_mask:0xf// 000000003CB0: 0A0C4AFA FF015018
	v_mfma_f32_16x16x32_fp8_fp8 v[12:15], a[56:57], a[24:25], 0// 000000003CB8: D3F3000C 1A023138
	v_mfma_f32_16x16x32_fp8_fp8 v[12:15], a[58:59], a[26:27], v[12:15]// 000000003CC0: D3F3000C 1C32353A
	buffer_load_dwordx4 a[92:95], v47, s[84:87], 0 offen offset:1024// 000000003CC8: E05C1400 80955C2F
	v_mfma_f32_16x16x32_fp8_fp8 v[12:15], a[60:61], a[28:29], v[12:15]// 000000003CD0: D3F3000C 1C32393C
	v_mfma_f32_16x16x32_fp8_fp8 v[12:15], a[62:63], a[30:31], v[12:15]// 000000003CD8: D3F3000C 1C323D3E
	v_fma_f32 v60, v8, v4, v60                                 // 000000003CE0: D1CB003C 04F20908
	v_fma_f32 v61, v9, v4, v61                                 // 000000003CE8: D1CB003D 04F60909
	v_fma_f32 v62, v10, v4, v62                                // 000000003CF0: D1CB003E 04FA090A
	v_fma_f32 v63, v11, v4, v63                                // 000000003CF8: D1CB003F 04FE090B
	v_mul_f32_dpp v4, v24, v38 row_newbcast:0 row_mask:0xf bank_mask:0xf// 000000003D00: 0A084CFA FF015018
	v_mfma_f32_16x16x32_fp8_fp8 v[8:11], a[56:57], a[32:33], 0 // 000000003D08: D3F30008 1A024138
	v_mfma_f32_16x16x32_fp8_fp8 v[8:11], a[58:59], a[34:35], v[8:11]// 000000003D10: D3F30008 1C22453A
	buffer_load_dwordx4 a[96:99], v48, s[84:87], 0 offen       // 000000003D18: E05C1000 80956030
	v_mfma_f32_16x16x32_fp8_fp8 v[8:11], a[60:61], a[36:37], v[8:11]// 000000003D20: D3F30008 1C22493C
	v_mfma_f32_16x16x32_fp8_fp8 v[8:11], a[62:63], a[38:39], v[8:11]// 000000003D28: D3F30008 1C224D3E
	v_fma_f32 v64, v12, v6, v64                                // 000000003D30: D1CB0040 05020D0C
	v_fma_f32 v65, v13, v6, v65                                // 000000003D38: D1CB0041 05060D0D
	v_fma_f32 v66, v14, v6, v66                                // 000000003D40: D1CB0042 050A0D0E
	v_fma_f32 v67, v15, v6, v67                                // 000000003D48: D1CB0043 050E0D0F
	v_mul_f32_dpp v6, v24, v39 row_newbcast:0 row_mask:0xf bank_mask:0xf// 000000003D50: 0A0C4EFA FF015018
	v_mfma_f32_16x16x32_fp8_fp8 v[12:15], a[56:57], a[40:41], 0// 000000003D58: D3F3000C 1A025138
	v_mfma_f32_16x16x32_fp8_fp8 v[12:15], a[58:59], a[42:43], v[12:15]// 000000003D60: D3F3000C 1C32553A
	buffer_load_dwordx4 a[100:103], v48, s[84:87], 0 offen offset:1024// 000000003D68: E05C1400 80956430
	v_mfma_f32_16x16x32_fp8_fp8 v[12:15], a[60:61], a[44:45], v[12:15]// 000000003D70: D3F3000C 1C32593C
	v_mfma_f32_16x16x32_fp8_fp8 v[12:15], a[62:63], a[46:47], v[12:15]// 000000003D78: D3F3000C 1C325D3E
	v_fma_f32 v68, v8, v4, v68                                 // 000000003D80: D1CB0044 05120908
	v_fma_f32 v69, v9, v4, v69                                 // 000000003D88: D1CB0045 05160909
	v_fma_f32 v70, v10, v4, v70                                // 000000003D90: D1CB0046 051A090A
	v_fma_f32 v71, v11, v4, v71                                // 000000003D98: D1CB0047 051E090B
	s_waitcnt vmcnt(9)                                         // 000000003DA0: BF8C0F79
	v_mul_f32_dpp v4, v24, v37 row_newbcast:1 row_mask:0xf bank_mask:0xf// 000000003DA4: 0A084AFA FF015118
	v_mfma_f32_16x16x32_fp8_fp8 v[8:11], a[64:65], a[24:25], 0 // 000000003DAC: D3F30008 1A023140
	v_mfma_f32_16x16x32_fp8_fp8 v[8:11], a[66:67], a[26:27], v[8:11]// 000000003DB4: D3F30008 1C223542
	buffer_load_dwordx4 a[104:107], v49, s[84:87], 0 offen     // 000000003DBC: E05C1000 80956831
	v_mfma_f32_16x16x32_fp8_fp8 v[8:11], a[68:69], a[28:29], v[8:11]// 000000003DC4: D3F30008 1C223944
	v_mfma_f32_16x16x32_fp8_fp8 v[8:11], a[70:71], a[30:31], v[8:11]// 000000003DCC: D3F30008 1C223D46
	v_fma_f32 v72, v12, v6, v72                                // 000000003DD4: D1CB0048 05220D0C
	v_fma_f32 v73, v13, v6, v73                                // 000000003DDC: D1CB0049 05260D0D
	v_fma_f32 v74, v14, v6, v74                                // 000000003DE4: D1CB004A 052A0D0E
	v_fma_f32 v75, v15, v6, v75                                // 000000003DEC: D1CB004B 052E0D0F
	v_mul_f32_dpp v6, v24, v38 row_newbcast:1 row_mask:0xf bank_mask:0xf// 000000003DF4: 0A0C4CFA FF015118
	v_mfma_f32_16x16x32_fp8_fp8 v[12:15], a[64:65], a[32:33], 0// 000000003DFC: D3F3000C 1A024140
	v_mfma_f32_16x16x32_fp8_fp8 v[12:15], a[66:67], a[34:35], v[12:15]// 000000003E04: D3F3000C 1C324542
	buffer_load_dwordx4 a[108:111], v49, s[84:87], 0 offen offset:1024// 000000003E0C: E05C1400 80956C31
	buffer_load_dword v40, s[20:23], 0 offen lds               // 000000003E14: E0511000 80050028
	s_add_u32 m0, 0x100, s49                                   // 000000003E1C: 807C31FF 00000100
	v_mfma_f32_16x16x32_fp8_fp8 v[12:15], a[68:69], a[36:37], v[12:15]// 000000003E24: D3F3000C 1C324944
	v_mfma_f32_16x16x32_fp8_fp8 v[12:15], a[70:71], a[38:39], v[12:15]// 000000003E2C: D3F3000C 1C324D46
	buffer_load_dword v41, s[20:23], 0 offen lds               // 000000003E34: E0511000 80050029
	s_add_u32 m0, 0x200, s49                                   // 000000003E3C: 807C31FF 00000200
	v_fma_f32 v76, v8, v4, v76                                 // 000000003E44: D1CB004C 05320908
	v_fma_f32 v77, v9, v4, v77                                 // 000000003E4C: D1CB004D 05360909
	v_fma_f32 v78, v10, v4, v78                                // 000000003E54: D1CB004E 053A090A
	v_fma_f32 v79, v11, v4, v79                                // 000000003E5C: D1CB004F 053E090B
	v_mul_f32_dpp v4, v24, v39 row_newbcast:1 row_mask:0xf bank_mask:0xf// 000000003E64: 0A084EFA FF015118
	v_mfma_f32_16x16x32_fp8_fp8 v[8:11], a[64:65], a[40:41], 0 // 000000003E6C: D3F30008 1A025140
	v_mfma_f32_16x16x32_fp8_fp8 v[8:11], a[66:67], a[42:43], v[8:11]// 000000003E74: D3F30008 1C225542
	buffer_load_dword v42, s[20:23], 0 offen lds               // 000000003E7C: E0511000 8005002A
	s_add_u32 m0, 0x300, s49                                   // 000000003E84: 807C31FF 00000300
	v_mfma_f32_16x16x32_fp8_fp8 v[8:11], a[68:69], a[44:45], v[8:11]// 000000003E8C: D3F30008 1C225944
	v_mfma_f32_16x16x32_fp8_fp8 v[8:11], a[70:71], a[46:47], v[8:11]// 000000003E94: D3F30008 1C225D46
	buffer_load_dword v43, s[20:23], 0 offen lds               // 000000003E9C: E0511000 8005002B
	s_add_u32 m0, 0x400, s49                                   // 000000003EA4: 807C31FF 00000400
	v_fma_f32 v80, v12, v6, v80                                // 000000003EAC: D1CB0050 05420D0C
	v_fma_f32 v81, v13, v6, v81                                // 000000003EB4: D1CB0051 05460D0D
	v_fma_f32 v82, v14, v6, v82                                // 000000003EBC: D1CB0052 054A0D0E
	v_fma_f32 v83, v15, v6, v83                                // 000000003EC4: D1CB0053 054E0D0F
	s_waitcnt vmcnt(13)                                        // 000000003ECC: BF8C0F7D
	v_mul_f32_dpp v6, v24, v37 row_newbcast:1 row_mask:0xf bank_mask:0xf// 000000003ED0: 0A0C4AFA FF015118
	v_mfma_f32_16x16x32_fp8_fp8 v[12:15], a[72:73], a[24:25], 0// 000000003ED8: D3F3000C 1A023148
	v_mfma_f32_16x16x32_fp8_fp8 v[12:15], a[74:75], a[26:27], v[12:15]// 000000003EE0: D3F3000C 1C32354A
	buffer_load_dword v44, s[20:23], 0 offen lds               // 000000003EE8: E0511000 8005002C
	s_add_u32 m0, 0x500, s49                                   // 000000003EF0: 807C31FF 00000500
	v_mfma_f32_16x16x32_fp8_fp8 v[12:15], a[76:77], a[28:29], v[12:15]// 000000003EF8: D3F3000C 1C32394C
	v_mfma_f32_16x16x32_fp8_fp8 v[12:15], a[78:79], a[30:31], v[12:15]// 000000003F00: D3F3000C 1C323D4E
	buffer_load_dword v45, s[20:23], 0 offen lds               // 000000003F08: E0511000 8005002D
	s_add_u32 m0, 0, s48                                       // 000000003F10: 807C3080
	v_fma_f32 v84, v8, v4, v84                                 // 000000003F14: D1CB0054 05520908
	v_fma_f32 v85, v9, v4, v85                                 // 000000003F1C: D1CB0055 05560909
	v_fma_f32 v86, v10, v4, v86                                // 000000003F24: D1CB0056 055A090A
	v_fma_f32 v87, v11, v4, v87                                // 000000003F2C: D1CB0057 055E090B
	v_mul_f32_dpp v4, v24, v38 row_newbcast:1 row_mask:0xf bank_mask:0xf// 000000003F34: 0A084CFA FF015118
	v_mfma_f32_16x16x32_fp8_fp8 v[8:11], a[72:73], a[32:33], 0 // 000000003F3C: D3F30008 1A024148
	v_mfma_f32_16x16x32_fp8_fp8 v[8:11], a[74:75], a[34:35], v[8:11]// 000000003F44: D3F30008 1C22454A
	buffer_load_dword v34, v28, s[28:31], 0 offen              // 000000003F4C: E0501000 8007221C
	v_mfma_f32_16x16x32_fp8_fp8 v[8:11], a[76:77], a[36:37], v[8:11]// 000000003F54: D3F30008 1C22494C
	v_mfma_f32_16x16x32_fp8_fp8 v[8:11], a[78:79], a[38:39], v[8:11]// 000000003F5C: D3F30008 1C224D4E
	buffer_load_dword v35, v29, s[28:31], 0 offen              // 000000003F64: E0501000 8007231D
	v_fma_f32 v88, v12, v6, v88                                // 000000003F6C: D1CB0058 05620D0C
	v_fma_f32 v89, v13, v6, v89                                // 000000003F74: D1CB0059 05660D0D
	v_fma_f32 v90, v14, v6, v90                                // 000000003F7C: D1CB005A 056A0D0E
	v_fma_f32 v91, v15, v6, v91                                // 000000003F84: D1CB005B 056E0D0F
	v_mul_f32_dpp v6, v24, v39 row_newbcast:1 row_mask:0xf bank_mask:0xf// 000000003F8C: 0A0C4EFA FF015118
	v_mfma_f32_16x16x32_fp8_fp8 v[12:15], a[72:73], a[40:41], 0// 000000003F94: D3F3000C 1A025148
	v_mfma_f32_16x16x32_fp8_fp8 v[12:15], a[74:75], a[42:43], v[12:15]// 000000003F9C: D3F3000C 1C32554A
	buffer_load_dword v36, v30, s[28:31], 0 offen              // 000000003FA4: E0501000 8007241E
	s_add_u32 s60, 0x80, s80                                   // 000000003FAC: 803C50FF 00000080
	s_cmp_lt_u32 s60, s81                                      // 000000003FB4: BF0A513C
	s_cselect_b32 s83, s83, 0                                  // 000000003FB8: 85538053
	s_cselect_b32 s4, s4, 0                                    // 000000003FBC: 85048004
	v_mfma_f32_16x16x32_fp8_fp8 v[12:15], a[76:77], a[44:45], v[12:15]// 000000003FC0: D3F3000C 1C32594C
	s_add_u32 s32, s4, s32                                     // 000000003FC8: 80202004
	s_addc_u32 s33, 0, s33                                     // 000000003FCC: 82212180
	v_mfma_f32_16x16x32_fp8_fp8 v[12:15], a[78:79], a[46:47], v[12:15]// 000000003FD0: D3F3000C 1C325D4E
	v_fma_f32 v92, v8, v4, v92                                 // 000000003FD8: D1CB005C 05720908
	v_fma_f32 v93, v9, v4, v93                                 // 000000003FE0: D1CB005D 05760909
	v_fma_f32 v94, v10, v4, v94                                // 000000003FE8: D1CB005E 057A090A
	v_fma_f32 v95, v11, v4, v95                                // 000000003FF0: D1CB005F 057E090B
	v_fma_f32 v96, v12, v6, v96                                // 000000003FF8: D1CB0060 05820D0C
	v_fma_f32 v97, v13, v6, v97                                // 000000004000: D1CB0061 05860D0D
	v_fma_f32 v98, v14, v6, v98                                // 000000004008: D1CB0062 058A0D0E
	v_fma_f32 v99, v15, v6, v99                                // 000000004010: D1CB0063 058E0D0F
	s_waitcnt vmcnt(9)                                         // 000000004018: BF8C0F79
	v_mul_f32_dpp v4, v27, v37 row_newbcast:0 row_mask:0xf bank_mask:0xf// 00000000401C: 0A084AFA FF01501B
	v_mfma_f32_16x16x32_fp8_fp8 v[8:11], a[80:81], a[24:25], 0 // 000000004024: D3F30008 1A023150
	buffer_load_dword v24, v22, s[32:35], 0 offen              // 00000000402C: E0501000 80081816
	v_mfma_f32_16x16x32_fp8_fp8 v[8:11], a[82:83], a[26:27], v[8:11]// 000000004034: D3F30008 1C223552
	buffer_load_dwordx4 a[48:51], v46, s[24:27], 0 offen       // 00000000403C: E05C1000 8086302E
	v_mfma_f32_16x16x32_fp8_fp8 v[8:11], a[84:85], a[28:29], v[8:11]// 000000004044: D3F30008 1C223954
	v_mfma_f32_16x16x32_fp8_fp8 v[8:11], a[86:87], a[30:31], v[8:11]// 00000000404C: D3F30008 1C223D56
	ds_read_b128 a[0:3], v2                                    // 000000004054: DBFE0000 00000002
	ds_read_b128 a[4:7], v2 offset:64                          // 00000000405C: DBFE0040 04000002
	v_mfma_f32_16x16x32_fp8_fp8 v[12:15], a[88:89], a[24:25], 0// 000000004064: D3F3000C 1A023158
	v_mfma_f32_16x16x32_fp8_fp8 v[12:15], a[90:91], a[26:27], v[12:15]// 00000000406C: D3F3000C 1C32355A
	buffer_load_dwordx4 a[52:55], v46, s[24:27], 0 offen offset:1024// 000000004074: E05C1400 8086342E
	v_mfma_f32_16x16x32_fp8_fp8 v[12:15], a[92:93], a[28:29], v[12:15]// 00000000407C: D3F3000C 1C32395C
	v_mfma_f32_16x16x32_fp8_fp8 v[12:15], a[94:95], a[30:31], v[12:15]// 000000004084: D3F3000C 1C323D5E
	ds_read_b128 a[8:11], v2 offset:512                        // 00000000408C: DBFE0200 08000002
	ds_read_b128 a[12:15], v2 offset:576                       // 000000004094: DBFE0240 0C000002
	v_fma_f32 v100, v8, v4, v100                               // 00000000409C: D1CB0064 05920908
	v_fma_f32 v101, v9, v4, v101                               // 0000000040A4: D1CB0065 05960909
	v_fma_f32 v102, v10, v4, v102                              // 0000000040AC: D1CB0066 059A090A
	v_fma_f32 v103, v11, v4, v103                              // 0000000040B4: D1CB0067 059E090B
	v_mul_f32_dpp v6, v27, v37 row_newbcast:1 row_mask:0xf bank_mask:0xf// 0000000040BC: 0A0C4AFA FF01511B
	v_mfma_f32_16x16x32_fp8_fp8 v[8:11], a[96:97], a[24:25], 0 // 0000000040C4: D3F30008 1A023160
	v_mfma_f32_16x16x32_fp8_fp8 v[8:11], a[98:99], a[26:27], v[8:11]// 0000000040CC: D3F30008 1C223562
	buffer_load_dwordx4 a[56:59], v47, s[24:27], 0 offen       // 0000000040D4: E05C1000 8086382F
	v_mfma_f32_16x16x32_fp8_fp8 v[8:11], a[100:101], a[28:29], v[8:11]// 0000000040DC: D3F30008 1C223964
	v_mfma_f32_16x16x32_fp8_fp8 v[8:11], a[102:103], a[30:31], v[8:11]// 0000000040E4: D3F30008 1C223D66
	ds_read_b128 a[16:19], v2 offset:1024                      // 0000000040EC: DBFE0400 10000002
	ds_read_b128 a[20:23], v2 offset:1088                      // 0000000040F4: DBFE0440 14000002
	v_fma_f32 v112, v12, v4, v112                              // 0000000040FC: D1CB0070 05C2090C
	v_fma_f32 v113, v13, v4, v113                              // 000000004104: D1CB0071 05C6090D
	v_fma_f32 v114, v14, v4, v114                              // 00000000410C: D1CB0072 05CA090E
	v_fma_f32 v115, v15, v4, v115                              // 000000004114: D1CB0073 05CE090F
	v_mfma_f32_16x16x32_fp8_fp8 v[12:15], a[104:105], a[24:25], 0// 00000000411C: D3F3000C 1A023168
	v_mfma_f32_16x16x32_fp8_fp8 v[12:15], a[106:107], a[26:27], v[12:15]// 000000004124: D3F3000C 1C32356A
	buffer_load_dwordx4 a[60:63], v47, s[24:27], 0 offen offset:1024// 00000000412C: E05C1400 80863C2F
	v_mfma_f32_16x16x32_fp8_fp8 v[12:15], a[108:109], a[28:29], v[12:15]// 000000004134: D3F3000C 1C32396C
	v_mfma_f32_16x16x32_fp8_fp8 v[12:15], a[110:111], a[30:31], v[12:15]// 00000000413C: D3F3000C 1C323D6E
	v_fma_f32 v124, v8, v6, v124                               // 000000004144: D1CB007C 05F20D08
	v_fma_f32 v125, v9, v6, v125                               // 00000000414C: D1CB007D 05F60D09
	v_fma_f32 v126, v10, v6, v126                              // 000000004154: D1CB007E 05FA0D0A
	v_fma_f32 v127, v11, v6, v127                              // 00000000415C: D1CB007F 05FE0D0B
	v_mul_f32_dpp v4, v27, v38 row_newbcast:0 row_mask:0xf bank_mask:0xf// 000000004164: 0A084CFA FF01501B
	v_mfma_f32_16x16x32_fp8_fp8 v[8:11], a[80:81], a[32:33], 0 // 00000000416C: D3F30008 1A024150
	v_mfma_f32_16x16x32_fp8_fp8 v[8:11], a[82:83], a[34:35], v[8:11]// 000000004174: D3F30008 1C224552
	buffer_load_dwordx4 a[64:67], v48, s[24:27], 0 offen       // 00000000417C: E05C1000 80864030
	v_mfma_f32_16x16x32_fp8_fp8 v[8:11], a[84:85], a[36:37], v[8:11]// 000000004184: D3F30008 1C224954
	v_mfma_f32_16x16x32_fp8_fp8 v[8:11], a[86:87], a[38:39], v[8:11]// 00000000418C: D3F30008 1C224D56
	v_fma_f32 v136, v12, v6, v136                              // 000000004194: D1CB0088 06220D0C
	v_fma_f32 v137, v13, v6, v137                              // 00000000419C: D1CB0089 06260D0D
	v_fma_f32 v138, v14, v6, v138                              // 0000000041A4: D1CB008A 062A0D0E
	v_fma_f32 v139, v15, v6, v139                              // 0000000041AC: D1CB008B 062E0D0F
	v_mfma_f32_16x16x32_fp8_fp8 v[12:15], a[88:89], a[32:33], 0// 0000000041B4: D3F3000C 1A024158
	v_mfma_f32_16x16x32_fp8_fp8 v[12:15], a[90:91], a[34:35], v[12:15]// 0000000041BC: D3F3000C 1C32455A
	buffer_load_dwordx4 a[68:71], v48, s[24:27], 0 offen offset:1024// 0000000041C4: E05C1400 80864430
	v_mfma_f32_16x16x32_fp8_fp8 v[12:15], a[92:93], a[36:37], v[12:15]// 0000000041CC: D3F3000C 1C32495C
	v_mfma_f32_16x16x32_fp8_fp8 v[12:15], a[94:95], a[38:39], v[12:15]// 0000000041D4: D3F3000C 1C324D5E
	v_fma_f32 v104, v8, v4, v104                               // 0000000041DC: D1CB0068 05A20908
	v_fma_f32 v105, v9, v4, v105                               // 0000000041E4: D1CB0069 05A60909
	v_fma_f32 v106, v10, v4, v106                              // 0000000041EC: D1CB006A 05AA090A
	v_fma_f32 v107, v11, v4, v107                              // 0000000041F4: D1CB006B 05AE090B
	v_mul_f32_dpp v6, v27, v38 row_newbcast:1 row_mask:0xf bank_mask:0xf// 0000000041FC: 0A0C4CFA FF01511B
	v_mfma_f32_16x16x32_fp8_fp8 v[8:11], a[96:97], a[32:33], 0 // 000000004204: D3F30008 1A024160
	v_mfma_f32_16x16x32_fp8_fp8 v[8:11], a[98:99], a[34:35], v[8:11]// 00000000420C: D3F30008 1C224562
	buffer_load_dwordx4 a[72:75], v49, s[24:27], 0 offen       // 000000004214: E05C1000 80864831
	v_mfma_f32_16x16x32_fp8_fp8 v[8:11], a[100:101], a[36:37], v[8:11]// 00000000421C: D3F30008 1C224964
	v_mfma_f32_16x16x32_fp8_fp8 v[8:11], a[102:103], a[38:39], v[8:11]// 000000004224: D3F30008 1C224D66
	v_fma_f32 v116, v12, v4, v116                              // 00000000422C: D1CB0074 05D2090C
	v_fma_f32 v117, v13, v4, v117                              // 000000004234: D1CB0075 05D6090D
	v_fma_f32 v118, v14, v4, v118                              // 00000000423C: D1CB0076 05DA090E
	v_fma_f32 v119, v15, v4, v119                              // 000000004244: D1CB0077 05DE090F
	v_mfma_f32_16x16x32_fp8_fp8 v[12:15], a[104:105], a[32:33], 0// 00000000424C: D3F3000C 1A024168
	v_mfma_f32_16x16x32_fp8_fp8 v[12:15], a[106:107], a[34:35], v[12:15]// 000000004254: D3F3000C 1C32456A
	buffer_load_dwordx4 a[76:79], v49, s[24:27], 0 offen offset:1024// 00000000425C: E05C1400 80864C31
	v_mfma_f32_16x16x32_fp8_fp8 v[12:15], a[108:109], a[36:37], v[12:15]// 000000004264: D3F3000C 1C32496C
	v_mfma_f32_16x16x32_fp8_fp8 v[12:15], a[110:111], a[38:39], v[12:15]// 00000000426C: D3F3000C 1C324D6E
	v_fma_f32 v128, v8, v6, v128                               // 000000004274: D1CB0080 06020D08
	v_fma_f32 v129, v9, v6, v129                               // 00000000427C: D1CB0081 06060D09
	v_fma_f32 v130, v10, v6, v130                              // 000000004284: D1CB0082 060A0D0A
	v_fma_f32 v131, v11, v6, v131                              // 00000000428C: D1CB0083 060E0D0B
	v_mul_f32_dpp v4, v27, v39 row_newbcast:0 row_mask:0xf bank_mask:0xf// 000000004294: 0A084EFA FF01501B
	v_mfma_f32_16x16x32_fp8_fp8 v[8:11], a[80:81], a[40:41], 0 // 00000000429C: D3F30008 1A025150
	v_mfma_f32_16x16x32_fp8_fp8 v[8:11], a[82:83], a[42:43], v[8:11]// 0000000042A4: D3F30008 1C225552
	v_mfma_f32_16x16x32_fp8_fp8 v[8:11], a[84:85], a[44:45], v[8:11]// 0000000042AC: D3F30008 1C225954
	v_mfma_f32_16x16x32_fp8_fp8 v[8:11], a[86:87], a[46:47], v[8:11]// 0000000042B4: D3F30008 1C225D56
	v_fma_f32 v140, v12, v6, v140                              // 0000000042BC: D1CB008C 06320D0C
	v_fma_f32 v141, v13, v6, v141                              // 0000000042C4: D1CB008D 06360D0D
	v_fma_f32 v142, v14, v6, v142                              // 0000000042CC: D1CB008E 063A0D0E
	v_fma_f32 v143, v15, v6, v143                              // 0000000042D4: D1CB008F 063E0D0F
	v_mfma_f32_16x16x32_fp8_fp8 v[12:15], a[88:89], a[40:41], 0// 0000000042DC: D3F3000C 1A025158
	v_mfma_f32_16x16x32_fp8_fp8 v[12:15], a[90:91], a[42:43], v[12:15]// 0000000042E4: D3F3000C 1C32555A
	v_mfma_f32_16x16x32_fp8_fp8 v[12:15], a[92:93], a[44:45], v[12:15]// 0000000042EC: D3F3000C 1C32595C
	v_mfma_f32_16x16x32_fp8_fp8 v[12:15], a[94:95], a[46:47], v[12:15]// 0000000042F4: D3F3000C 1C325D5E
	v_fma_f32 v108, v8, v4, v108                               // 0000000042FC: D1CB006C 05B20908
	v_fma_f32 v109, v9, v4, v109                               // 000000004304: D1CB006D 05B60909
	v_fma_f32 v110, v10, v4, v110                              // 00000000430C: D1CB006E 05BA090A
	v_fma_f32 v111, v11, v4, v111                              // 000000004314: D1CB006F 05BE090B
	v_mul_f32_dpp v6, v27, v39 row_newbcast:1 row_mask:0xf bank_mask:0xf// 00000000431C: 0A0C4EFA FF01511B
	v_mfma_f32_16x16x32_fp8_fp8 v[8:11], a[96:97], a[40:41], 0 // 000000004324: D3F30008 1A025160
	v_mfma_f32_16x16x32_fp8_fp8 v[8:11], a[98:99], a[42:43], v[8:11]// 00000000432C: D3F30008 1C225562
	v_mfma_f32_16x16x32_fp8_fp8 v[8:11], a[100:101], a[44:45], v[8:11]// 000000004334: D3F30008 1C225964
	s_add_u32 s60, 0x180, s80                                  // 00000000433C: 803C50FF 00000180
	s_cmp_lt_u32 s60, s81                                      // 000000004344: BF0A513C
	s_cselect_b32 s57, s57, 0                                  // 000000004348: 85398039
	s_cselect_b32 s3, s3, 0                                    // 00000000434C: 85038003
	v_mfma_f32_16x16x32_fp8_fp8 v[8:11], a[102:103], a[46:47], v[8:11]// 000000004350: D3F30008 1C225D66
	s_add_u32 s60, 0x100, s80                                  // 000000004358: 803C50FF 00000100
	s_cmp_lt_u32 s60, s81                                      // 000000004360: BF0A513C
	s_cselect_b32 s58, s58, 0                                  // 000000004364: 853A803A
	v_fma_f32 v120, v12, v4, v120                              // 000000004368: D1CB0078 05E2090C
	v_fma_f32 v121, v13, v4, v121                              // 000000004370: D1CB0079 05E6090D
	v_fma_f32 v122, v14, v4, v122                              // 000000004378: D1CB007A 05EA090E
	v_fma_f32 v123, v15, v4, v123                              // 000000004380: D1CB007B 05EE090F
	v_mfma_f32_16x16x32_fp8_fp8 v[12:15], a[104:105], a[40:41], 0// 000000004388: D3F3000C 1A025168
	s_add_u32 s24, s58, s24                                    // 000000004390: 8018183A
	s_addc_u32 s25, 0, s25                                     // 000000004394: 82191980
	v_mfma_f32_16x16x32_fp8_fp8 v[12:15], a[106:107], a[42:43], v[12:15]// 000000004398: D3F3000C 1C32556A
	s_add_u32 s20, s57, s20                                    // 0000000043A0: 80141439
	s_addc_u32 s21, 0, s21                                     // 0000000043A4: 82151580
	s_add_u32 s28, s3, s28                                     // 0000000043A8: 801C1C03
	s_addc_u32 s29, 0, s29                                     // 0000000043AC: 821D1D80
	v_mfma_f32_16x16x32_fp8_fp8 v[12:15], a[108:109], a[44:45], v[12:15]// 0000000043B0: D3F3000C 1C32596C
	s_add_u32 s84, s83, s84                                    // 0000000043B8: 80545453
	s_addc_u32 s85, 0, s85                                     // 0000000043BC: 82555580
	v_mfma_f32_16x16x32_fp8_fp8 v[12:15], a[110:111], a[46:47], v[12:15]// 0000000043C0: D3F3000C 1C325D6E
	v_fma_f32 v132, v8, v6, v132                               // 0000000043C8: D1CB0084 06120D08
	v_fma_f32 v133, v9, v6, v133                               // 0000000043D0: D1CB0085 06160D09
	v_fma_f32 v134, v10, v6, v134                              // 0000000043D8: D1CB0086 061A0D0A
	v_fma_f32 v135, v11, v6, v135                              // 0000000043E0: D1CB0087 061E0D0B
	v_fma_f32 v144, v12, v6, v144                              // 0000000043E8: D1CB0090 06420D0C
	v_fma_f32 v145, v13, v6, v145                              // 0000000043F0: D1CB0091 06460D0D
	v_fma_f32 v146, v14, v6, v146                              // 0000000043F8: D1CB0092 064A0D0E
	v_fma_f32 v147, v15, v6, v147                              // 000000004400: D1CB0093 064E0D0F
	s_addk_i32 s80, 0x80                                       // 000000004408: B7500080
	s_cmp_lt_i32 s80, s81                                      // 00000000440C: BF045150
	s_cbranch_scc0 label_0686                                  // 000000004410: BF840001
	s_branch label_025B                                        // 000000004414: BF82FBD5

0000000000004418 <label_0686>:
	s_cmp_eq_u32 s88, 0                                        // 000000004418: BF068058
	s_cbranch_scc0 label_0D99                                  // 00000000441C: BF840711
	s_cmp_eq_u32 s89, 0                                        // 000000004420: BF068059
	s_cbranch_scc1 label_086F                                  // 000000004424: BF8501E5
	v_mov_b32_e32 v8, v1                                       // 000000004428: 7E100301
	v_mov_b32_e32 v9, v1                                       // 00000000442C: 7E120301
	s_mov_b32 s60, s6                                          // 000000004430: BEBC0006
	s_mov_b32 s61, s6                                          // 000000004434: BEBD0006
	v_pk_mul_f32 v[4:5], v[52:53], v[52:53]                    // 000000004438: D3B14004 18026934
	v_pk_mul_f32 v[6:7], v[54:55], v[54:55]                    // 000000004440: D3B14006 18026D36
	v_pk_fma_f32 v[4:5], v[4:5], s[78:79], v[8:9]              // 000000004448: D3B04004 1C209D04
	v_pk_fma_f32 v[6:7], v[6:7], s[78:79], v[8:9]              // 000000004450: D3B04006 1C209D06
	v_pk_mul_f32 v[4:5], v[4:5], v[52:53]                      // 000000004458: D3B14004 18026904
	v_pk_mul_f32 v[6:7], v[6:7], v[54:55]                      // 000000004460: D3B14006 18026D06
	v_pk_mul_f32 v[4:5], v[4:5], s[60:61]                      // 000000004468: D3B14004 18007904
	v_pk_mul_f32 v[6:7], v[6:7], s[60:61]                      // 000000004470: D3B14006 18007906
	v_exp_f32_e32 v4, v4                                       // 000000004478: 7E084104
	v_exp_f32_e32 v5, v5                                       // 00000000447C: 7E0A4105
	v_exp_f32_e32 v6, v6                                       // 000000004480: 7E0C4106
	v_exp_f32_e32 v7, v7                                       // 000000004484: 7E0E4107
	v_add_f32_e64 v4, v4, 1.0                                  // 000000004488: D1010004 0001E504
	v_add_f32_e64 v5, v5, 1.0                                  // 000000004490: D1010005 0001E505
	v_add_f32_e64 v6, v6, 1.0                                  // 000000004498: D1010006 0001E506
	v_add_f32_e64 v7, v7, 1.0                                  // 0000000044A0: D1010007 0001E507
	v_rcp_f32_e32 v4, v4                                       // 0000000044A8: 7E084504
	v_rcp_f32_e32 v5, v5                                       // 0000000044AC: 7E0A4505
	v_rcp_f32_e32 v6, v6                                       // 0000000044B0: 7E0C4506
	v_rcp_f32_e32 v7, v7                                       // 0000000044B4: 7E0E4507
	v_mul_f32_e32 v52, v52, v4                                 // 0000000044B8: 0A680934
	v_mul_f32_e32 v53, v53, v5                                 // 0000000044BC: 0A6A0B35
	v_mul_f32_e32 v54, v54, v6                                 // 0000000044C0: 0A6C0D36
	v_mul_f32_e32 v55, v55, v7                                 // 0000000044C4: 0A6E0F37
	v_mul_f32_e32 v52, v52, v100                               // 0000000044C8: 0A68C934
	v_mul_f32_e32 v53, v53, v101                               // 0000000044CC: 0A6ACB35
	v_mul_f32_e32 v54, v54, v102                               // 0000000044D0: 0A6CCD36
	v_mul_f32_e32 v55, v55, v103                               // 0000000044D4: 0A6ECF37
	v_pk_mul_f32 v[4:5], v[56:57], v[56:57]                    // 0000000044D8: D3B14004 18027138
	v_pk_mul_f32 v[6:7], v[58:59], v[58:59]                    // 0000000044E0: D3B14006 1802753A
	v_pk_fma_f32 v[4:5], v[4:5], s[78:79], v[8:9]              // 0000000044E8: D3B04004 1C209D04
	v_pk_fma_f32 v[6:7], v[6:7], s[78:79], v[8:9]              // 0000000044F0: D3B04006 1C209D06
	v_pk_mul_f32 v[4:5], v[4:5], v[56:57]                      // 0000000044F8: D3B14004 18027104
	v_pk_mul_f32 v[6:7], v[6:7], v[58:59]                      // 000000004500: D3B14006 18027506
	v_pk_mul_f32 v[4:5], v[4:5], s[60:61]                      // 000000004508: D3B14004 18007904
	v_pk_mul_f32 v[6:7], v[6:7], s[60:61]                      // 000000004510: D3B14006 18007906
	v_exp_f32_e32 v4, v4                                       // 000000004518: 7E084104
	v_exp_f32_e32 v5, v5                                       // 00000000451C: 7E0A4105
	v_exp_f32_e32 v6, v6                                       // 000000004520: 7E0C4106
	v_exp_f32_e32 v7, v7                                       // 000000004524: 7E0E4107
	v_add_f32_e64 v4, v4, 1.0                                  // 000000004528: D1010004 0001E504
	v_add_f32_e64 v5, v5, 1.0                                  // 000000004530: D1010005 0001E505
	v_add_f32_e64 v6, v6, 1.0                                  // 000000004538: D1010006 0001E506
	v_add_f32_e64 v7, v7, 1.0                                  // 000000004540: D1010007 0001E507
	v_rcp_f32_e32 v4, v4                                       // 000000004548: 7E084504
	v_rcp_f32_e32 v5, v5                                       // 00000000454C: 7E0A4505
	v_rcp_f32_e32 v6, v6                                       // 000000004550: 7E0C4506
	v_rcp_f32_e32 v7, v7                                       // 000000004554: 7E0E4507
	v_mul_f32_e32 v56, v56, v4                                 // 000000004558: 0A700938
	v_mul_f32_e32 v57, v57, v5                                 // 00000000455C: 0A720B39
	v_mul_f32_e32 v58, v58, v6                                 // 000000004560: 0A740D3A
	v_mul_f32_e32 v59, v59, v7                                 // 000000004564: 0A760F3B
	v_mul_f32_e32 v56, v56, v104                               // 000000004568: 0A70D138
	v_mul_f32_e32 v57, v57, v105                               // 00000000456C: 0A72D339
	v_mul_f32_e32 v58, v58, v106                               // 000000004570: 0A74D53A
	v_mul_f32_e32 v59, v59, v107                               // 000000004574: 0A76D73B
	v_pk_mul_f32 v[4:5], v[60:61], v[60:61]                    // 000000004578: D3B14004 1802793C
	v_pk_mul_f32 v[6:7], v[62:63], v[62:63]                    // 000000004580: D3B14006 18027D3E
	v_pk_fma_f32 v[4:5], v[4:5], s[78:79], v[8:9]              // 000000004588: D3B04004 1C209D04
	v_pk_fma_f32 v[6:7], v[6:7], s[78:79], v[8:9]              // 000000004590: D3B04006 1C209D06
	v_pk_mul_f32 v[4:5], v[4:5], v[60:61]                      // 000000004598: D3B14004 18027904
	v_pk_mul_f32 v[6:7], v[6:7], v[62:63]                      // 0000000045A0: D3B14006 18027D06
	v_pk_mul_f32 v[4:5], v[4:5], s[60:61]                      // 0000000045A8: D3B14004 18007904
	v_pk_mul_f32 v[6:7], v[6:7], s[60:61]                      // 0000000045B0: D3B14006 18007906
	v_exp_f32_e32 v4, v4                                       // 0000000045B8: 7E084104
	v_exp_f32_e32 v5, v5                                       // 0000000045BC: 7E0A4105
	v_exp_f32_e32 v6, v6                                       // 0000000045C0: 7E0C4106
	v_exp_f32_e32 v7, v7                                       // 0000000045C4: 7E0E4107
	v_add_f32_e64 v4, v4, 1.0                                  // 0000000045C8: D1010004 0001E504
	v_add_f32_e64 v5, v5, 1.0                                  // 0000000045D0: D1010005 0001E505
	v_add_f32_e64 v6, v6, 1.0                                  // 0000000045D8: D1010006 0001E506
	v_add_f32_e64 v7, v7, 1.0                                  // 0000000045E0: D1010007 0001E507
	v_rcp_f32_e32 v4, v4                                       // 0000000045E8: 7E084504
	v_rcp_f32_e32 v5, v5                                       // 0000000045EC: 7E0A4505
	v_rcp_f32_e32 v6, v6                                       // 0000000045F0: 7E0C4506
	v_rcp_f32_e32 v7, v7                                       // 0000000045F4: 7E0E4507
	v_mul_f32_e32 v60, v60, v4                                 // 0000000045F8: 0A78093C
	v_mul_f32_e32 v61, v61, v5                                 // 0000000045FC: 0A7A0B3D
	v_mul_f32_e32 v62, v62, v6                                 // 000000004600: 0A7C0D3E
	v_mul_f32_e32 v63, v63, v7                                 // 000000004604: 0A7E0F3F
	v_mul_f32_e32 v60, v60, v108                               // 000000004608: 0A78D93C
	v_mul_f32_e32 v61, v61, v109                               // 00000000460C: 0A7ADB3D
	v_mul_f32_e32 v62, v62, v110                               // 000000004610: 0A7CDD3E
	v_mul_f32_e32 v63, v63, v111                               // 000000004614: 0A7EDF3F
	v_pk_mul_f32 v[4:5], v[64:65], v[64:65]                    // 000000004618: D3B14004 18028140
	v_pk_mul_f32 v[6:7], v[66:67], v[66:67]                    // 000000004620: D3B14006 18028542
	v_pk_fma_f32 v[4:5], v[4:5], s[78:79], v[8:9]              // 000000004628: D3B04004 1C209D04
	v_pk_fma_f32 v[6:7], v[6:7], s[78:79], v[8:9]              // 000000004630: D3B04006 1C209D06
	v_pk_mul_f32 v[4:5], v[4:5], v[64:65]                      // 000000004638: D3B14004 18028104
	v_pk_mul_f32 v[6:7], v[6:7], v[66:67]                      // 000000004640: D3B14006 18028506
	v_pk_mul_f32 v[4:5], v[4:5], s[60:61]                      // 000000004648: D3B14004 18007904
	v_pk_mul_f32 v[6:7], v[6:7], s[60:61]                      // 000000004650: D3B14006 18007906
	v_exp_f32_e32 v4, v4                                       // 000000004658: 7E084104
	v_exp_f32_e32 v5, v5                                       // 00000000465C: 7E0A4105
	v_exp_f32_e32 v6, v6                                       // 000000004660: 7E0C4106
	v_exp_f32_e32 v7, v7                                       // 000000004664: 7E0E4107
	v_add_f32_e64 v4, v4, 1.0                                  // 000000004668: D1010004 0001E504
	v_add_f32_e64 v5, v5, 1.0                                  // 000000004670: D1010005 0001E505
	v_add_f32_e64 v6, v6, 1.0                                  // 000000004678: D1010006 0001E506
	v_add_f32_e64 v7, v7, 1.0                                  // 000000004680: D1010007 0001E507
	v_rcp_f32_e32 v4, v4                                       // 000000004688: 7E084504
	v_rcp_f32_e32 v5, v5                                       // 00000000468C: 7E0A4505
	v_rcp_f32_e32 v6, v6                                       // 000000004690: 7E0C4506
	v_rcp_f32_e32 v7, v7                                       // 000000004694: 7E0E4507
	v_mul_f32_e32 v64, v64, v4                                 // 000000004698: 0A800940
	v_mul_f32_e32 v65, v65, v5                                 // 00000000469C: 0A820B41
	v_mul_f32_e32 v66, v66, v6                                 // 0000000046A0: 0A840D42
	v_mul_f32_e32 v67, v67, v7                                 // 0000000046A4: 0A860F43
	v_mul_f32_e32 v64, v64, v112                               // 0000000046A8: 0A80E140
	v_mul_f32_e32 v65, v65, v113                               // 0000000046AC: 0A82E341
	v_mul_f32_e32 v66, v66, v114                               // 0000000046B0: 0A84E542
	v_mul_f32_e32 v67, v67, v115                               // 0000000046B4: 0A86E743
	v_pk_mul_f32 v[4:5], v[68:69], v[68:69]                    // 0000000046B8: D3B14004 18028944
	v_pk_mul_f32 v[6:7], v[70:71], v[70:71]                    // 0000000046C0: D3B14006 18028D46
	v_pk_fma_f32 v[4:5], v[4:5], s[78:79], v[8:9]              // 0000000046C8: D3B04004 1C209D04
	v_pk_fma_f32 v[6:7], v[6:7], s[78:79], v[8:9]              // 0000000046D0: D3B04006 1C209D06
	v_pk_mul_f32 v[4:5], v[4:5], v[68:69]                      // 0000000046D8: D3B14004 18028904
	v_pk_mul_f32 v[6:7], v[6:7], v[70:71]                      // 0000000046E0: D3B14006 18028D06
	v_pk_mul_f32 v[4:5], v[4:5], s[60:61]                      // 0000000046E8: D3B14004 18007904
	v_pk_mul_f32 v[6:7], v[6:7], s[60:61]                      // 0000000046F0: D3B14006 18007906
	v_exp_f32_e32 v4, v4                                       // 0000000046F8: 7E084104
	v_exp_f32_e32 v5, v5                                       // 0000000046FC: 7E0A4105
	v_exp_f32_e32 v6, v6                                       // 000000004700: 7E0C4106
	v_exp_f32_e32 v7, v7                                       // 000000004704: 7E0E4107
	v_add_f32_e64 v4, v4, 1.0                                  // 000000004708: D1010004 0001E504
	v_add_f32_e64 v5, v5, 1.0                                  // 000000004710: D1010005 0001E505
	v_add_f32_e64 v6, v6, 1.0                                  // 000000004718: D1010006 0001E506
	v_add_f32_e64 v7, v7, 1.0                                  // 000000004720: D1010007 0001E507
	v_rcp_f32_e32 v4, v4                                       // 000000004728: 7E084504
	v_rcp_f32_e32 v5, v5                                       // 00000000472C: 7E0A4505
	v_rcp_f32_e32 v6, v6                                       // 000000004730: 7E0C4506
	v_rcp_f32_e32 v7, v7                                       // 000000004734: 7E0E4507
	v_mul_f32_e32 v68, v68, v4                                 // 000000004738: 0A880944
	v_mul_f32_e32 v69, v69, v5                                 // 00000000473C: 0A8A0B45
	v_mul_f32_e32 v70, v70, v6                                 // 000000004740: 0A8C0D46
	v_mul_f32_e32 v71, v71, v7                                 // 000000004744: 0A8E0F47
	v_mul_f32_e32 v68, v68, v116                               // 000000004748: 0A88E944
	v_mul_f32_e32 v69, v69, v117                               // 00000000474C: 0A8AEB45
	v_mul_f32_e32 v70, v70, v118                               // 000000004750: 0A8CED46
	v_mul_f32_e32 v71, v71, v119                               // 000000004754: 0A8EEF47
	v_pk_mul_f32 v[4:5], v[72:73], v[72:73]                    // 000000004758: D3B14004 18029148
	v_pk_mul_f32 v[6:7], v[74:75], v[74:75]                    // 000000004760: D3B14006 1802954A
	v_pk_fma_f32 v[4:5], v[4:5], s[78:79], v[8:9]              // 000000004768: D3B04004 1C209D04
	v_pk_fma_f32 v[6:7], v[6:7], s[78:79], v[8:9]              // 000000004770: D3B04006 1C209D06
	v_pk_mul_f32 v[4:5], v[4:5], v[72:73]                      // 000000004778: D3B14004 18029104
	v_pk_mul_f32 v[6:7], v[6:7], v[74:75]                      // 000000004780: D3B14006 18029506
	v_pk_mul_f32 v[4:5], v[4:5], s[60:61]                      // 000000004788: D3B14004 18007904
	v_pk_mul_f32 v[6:7], v[6:7], s[60:61]                      // 000000004790: D3B14006 18007906
	v_exp_f32_e32 v4, v4                                       // 000000004798: 7E084104
	v_exp_f32_e32 v5, v5                                       // 00000000479C: 7E0A4105
	v_exp_f32_e32 v6, v6                                       // 0000000047A0: 7E0C4106
	v_exp_f32_e32 v7, v7                                       // 0000000047A4: 7E0E4107
	v_add_f32_e64 v4, v4, 1.0                                  // 0000000047A8: D1010004 0001E504
	v_add_f32_e64 v5, v5, 1.0                                  // 0000000047B0: D1010005 0001E505
	v_add_f32_e64 v6, v6, 1.0                                  // 0000000047B8: D1010006 0001E506
	v_add_f32_e64 v7, v7, 1.0                                  // 0000000047C0: D1010007 0001E507
	v_rcp_f32_e32 v4, v4                                       // 0000000047C8: 7E084504
	v_rcp_f32_e32 v5, v5                                       // 0000000047CC: 7E0A4505
	v_rcp_f32_e32 v6, v6                                       // 0000000047D0: 7E0C4506
	v_rcp_f32_e32 v7, v7                                       // 0000000047D4: 7E0E4507
	v_mul_f32_e32 v72, v72, v4                                 // 0000000047D8: 0A900948
	v_mul_f32_e32 v73, v73, v5                                 // 0000000047DC: 0A920B49
	v_mul_f32_e32 v74, v74, v6                                 // 0000000047E0: 0A940D4A
	v_mul_f32_e32 v75, v75, v7                                 // 0000000047E4: 0A960F4B
	v_mul_f32_e32 v72, v72, v120                               // 0000000047E8: 0A90F148
	v_mul_f32_e32 v73, v73, v121                               // 0000000047EC: 0A92F349
	v_mul_f32_e32 v74, v74, v122                               // 0000000047F0: 0A94F54A
	v_mul_f32_e32 v75, v75, v123                               // 0000000047F4: 0A96F74B
	v_pk_mul_f32 v[4:5], v[76:77], v[76:77]                    // 0000000047F8: D3B14004 1802994C
	v_pk_mul_f32 v[6:7], v[78:79], v[78:79]                    // 000000004800: D3B14006 18029D4E
	v_pk_fma_f32 v[4:5], v[4:5], s[78:79], v[8:9]              // 000000004808: D3B04004 1C209D04
	v_pk_fma_f32 v[6:7], v[6:7], s[78:79], v[8:9]              // 000000004810: D3B04006 1C209D06
	v_pk_mul_f32 v[4:5], v[4:5], v[76:77]                      // 000000004818: D3B14004 18029904
	v_pk_mul_f32 v[6:7], v[6:7], v[78:79]                      // 000000004820: D3B14006 18029D06
	v_pk_mul_f32 v[4:5], v[4:5], s[60:61]                      // 000000004828: D3B14004 18007904
	v_pk_mul_f32 v[6:7], v[6:7], s[60:61]                      // 000000004830: D3B14006 18007906
	v_exp_f32_e32 v4, v4                                       // 000000004838: 7E084104
	v_exp_f32_e32 v5, v5                                       // 00000000483C: 7E0A4105
	v_exp_f32_e32 v6, v6                                       // 000000004840: 7E0C4106
	v_exp_f32_e32 v7, v7                                       // 000000004844: 7E0E4107
	v_add_f32_e64 v4, v4, 1.0                                  // 000000004848: D1010004 0001E504
	v_add_f32_e64 v5, v5, 1.0                                  // 000000004850: D1010005 0001E505
	v_add_f32_e64 v6, v6, 1.0                                  // 000000004858: D1010006 0001E506
	v_add_f32_e64 v7, v7, 1.0                                  // 000000004860: D1010007 0001E507
	v_rcp_f32_e32 v4, v4                                       // 000000004868: 7E084504
	v_rcp_f32_e32 v5, v5                                       // 00000000486C: 7E0A4505
	v_rcp_f32_e32 v6, v6                                       // 000000004870: 7E0C4506
	v_rcp_f32_e32 v7, v7                                       // 000000004874: 7E0E4507
	v_mul_f32_e32 v76, v76, v4                                 // 000000004878: 0A98094C
	v_mul_f32_e32 v77, v77, v5                                 // 00000000487C: 0A9A0B4D
	v_mul_f32_e32 v78, v78, v6                                 // 000000004880: 0A9C0D4E
	v_mul_f32_e32 v79, v79, v7                                 // 000000004884: 0A9E0F4F
	v_mul_f32_e32 v76, v76, v124                               // 000000004888: 0A98F94C
	v_mul_f32_e32 v77, v77, v125                               // 00000000488C: 0A9AFB4D
	v_mul_f32_e32 v78, v78, v126                               // 000000004890: 0A9CFD4E
	v_mul_f32_e32 v79, v79, v127                               // 000000004894: 0A9EFF4F
	v_pk_mul_f32 v[4:5], v[80:81], v[80:81]                    // 000000004898: D3B14004 1802A150
	v_pk_mul_f32 v[6:7], v[82:83], v[82:83]                    // 0000000048A0: D3B14006 1802A552
	v_pk_fma_f32 v[4:5], v[4:5], s[78:79], v[8:9]              // 0000000048A8: D3B04004 1C209D04
	v_pk_fma_f32 v[6:7], v[6:7], s[78:79], v[8:9]              // 0000000048B0: D3B04006 1C209D06
	v_pk_mul_f32 v[4:5], v[4:5], v[80:81]                      // 0000000048B8: D3B14004 1802A104
	v_pk_mul_f32 v[6:7], v[6:7], v[82:83]                      // 0000000048C0: D3B14006 1802A506
	v_pk_mul_f32 v[4:5], v[4:5], s[60:61]                      // 0000000048C8: D3B14004 18007904
	v_pk_mul_f32 v[6:7], v[6:7], s[60:61]                      // 0000000048D0: D3B14006 18007906
	v_exp_f32_e32 v4, v4                                       // 0000000048D8: 7E084104
	v_exp_f32_e32 v5, v5                                       // 0000000048DC: 7E0A4105
	v_exp_f32_e32 v6, v6                                       // 0000000048E0: 7E0C4106
	v_exp_f32_e32 v7, v7                                       // 0000000048E4: 7E0E4107
	v_add_f32_e64 v4, v4, 1.0                                  // 0000000048E8: D1010004 0001E504
	v_add_f32_e64 v5, v5, 1.0                                  // 0000000048F0: D1010005 0001E505
	v_add_f32_e64 v6, v6, 1.0                                  // 0000000048F8: D1010006 0001E506
	v_add_f32_e64 v7, v7, 1.0                                  // 000000004900: D1010007 0001E507
	v_rcp_f32_e32 v4, v4                                       // 000000004908: 7E084504
	v_rcp_f32_e32 v5, v5                                       // 00000000490C: 7E0A4505
	v_rcp_f32_e32 v6, v6                                       // 000000004910: 7E0C4506
	v_rcp_f32_e32 v7, v7                                       // 000000004914: 7E0E4507
	v_mul_f32_e32 v80, v80, v4                                 // 000000004918: 0AA00950
	v_mul_f32_e32 v81, v81, v5                                 // 00000000491C: 0AA20B51
	v_mul_f32_e32 v82, v82, v6                                 // 000000004920: 0AA40D52
	v_mul_f32_e32 v83, v83, v7                                 // 000000004924: 0AA60F53
	v_mul_f32_e32 v80, v80, v128                               // 000000004928: 0AA10150
	v_mul_f32_e32 v81, v81, v129                               // 00000000492C: 0AA30351
	v_mul_f32_e32 v82, v82, v130                               // 000000004930: 0AA50552
	v_mul_f32_e32 v83, v83, v131                               // 000000004934: 0AA70753
	v_pk_mul_f32 v[4:5], v[84:85], v[84:85]                    // 000000004938: D3B14004 1802A954
	v_pk_mul_f32 v[6:7], v[86:87], v[86:87]                    // 000000004940: D3B14006 1802AD56
	v_pk_fma_f32 v[4:5], v[4:5], s[78:79], v[8:9]              // 000000004948: D3B04004 1C209D04
	v_pk_fma_f32 v[6:7], v[6:7], s[78:79], v[8:9]              // 000000004950: D3B04006 1C209D06
	v_pk_mul_f32 v[4:5], v[4:5], v[84:85]                      // 000000004958: D3B14004 1802A904
	v_pk_mul_f32 v[6:7], v[6:7], v[86:87]                      // 000000004960: D3B14006 1802AD06
	v_pk_mul_f32 v[4:5], v[4:5], s[60:61]                      // 000000004968: D3B14004 18007904
	v_pk_mul_f32 v[6:7], v[6:7], s[60:61]                      // 000000004970: D3B14006 18007906
	v_exp_f32_e32 v4, v4                                       // 000000004978: 7E084104
	v_exp_f32_e32 v5, v5                                       // 00000000497C: 7E0A4105
	v_exp_f32_e32 v6, v6                                       // 000000004980: 7E0C4106
	v_exp_f32_e32 v7, v7                                       // 000000004984: 7E0E4107
	v_add_f32_e64 v4, v4, 1.0                                  // 000000004988: D1010004 0001E504
	v_add_f32_e64 v5, v5, 1.0                                  // 000000004990: D1010005 0001E505
	v_add_f32_e64 v6, v6, 1.0                                  // 000000004998: D1010006 0001E506
	v_add_f32_e64 v7, v7, 1.0                                  // 0000000049A0: D1010007 0001E507
	v_rcp_f32_e32 v4, v4                                       // 0000000049A8: 7E084504
	v_rcp_f32_e32 v5, v5                                       // 0000000049AC: 7E0A4505
	v_rcp_f32_e32 v6, v6                                       // 0000000049B0: 7E0C4506
	v_rcp_f32_e32 v7, v7                                       // 0000000049B4: 7E0E4507
	v_mul_f32_e32 v84, v84, v4                                 // 0000000049B8: 0AA80954
	v_mul_f32_e32 v85, v85, v5                                 // 0000000049BC: 0AAA0B55
	v_mul_f32_e32 v86, v86, v6                                 // 0000000049C0: 0AAC0D56
	v_mul_f32_e32 v87, v87, v7                                 // 0000000049C4: 0AAE0F57
	v_mul_f32_e32 v84, v84, v132                               // 0000000049C8: 0AA90954
	v_mul_f32_e32 v85, v85, v133                               // 0000000049CC: 0AAB0B55
	v_mul_f32_e32 v86, v86, v134                               // 0000000049D0: 0AAD0D56
	v_mul_f32_e32 v87, v87, v135                               // 0000000049D4: 0AAF0F57
	v_pk_mul_f32 v[4:5], v[88:89], v[88:89]                    // 0000000049D8: D3B14004 1802B158
	v_pk_mul_f32 v[6:7], v[90:91], v[90:91]                    // 0000000049E0: D3B14006 1802B55A
	v_pk_fma_f32 v[4:5], v[4:5], s[78:79], v[8:9]              // 0000000049E8: D3B04004 1C209D04
	v_pk_fma_f32 v[6:7], v[6:7], s[78:79], v[8:9]              // 0000000049F0: D3B04006 1C209D06
	v_pk_mul_f32 v[4:5], v[4:5], v[88:89]                      // 0000000049F8: D3B14004 1802B104
	v_pk_mul_f32 v[6:7], v[6:7], v[90:91]                      // 000000004A00: D3B14006 1802B506
	v_pk_mul_f32 v[4:5], v[4:5], s[60:61]                      // 000000004A08: D3B14004 18007904
	v_pk_mul_f32 v[6:7], v[6:7], s[60:61]                      // 000000004A10: D3B14006 18007906
	v_exp_f32_e32 v4, v4                                       // 000000004A18: 7E084104
	v_exp_f32_e32 v5, v5                                       // 000000004A1C: 7E0A4105
	v_exp_f32_e32 v6, v6                                       // 000000004A20: 7E0C4106
	v_exp_f32_e32 v7, v7                                       // 000000004A24: 7E0E4107
	v_add_f32_e64 v4, v4, 1.0                                  // 000000004A28: D1010004 0001E504
	v_add_f32_e64 v5, v5, 1.0                                  // 000000004A30: D1010005 0001E505
	v_add_f32_e64 v6, v6, 1.0                                  // 000000004A38: D1010006 0001E506
	v_add_f32_e64 v7, v7, 1.0                                  // 000000004A40: D1010007 0001E507
	v_rcp_f32_e32 v4, v4                                       // 000000004A48: 7E084504
	v_rcp_f32_e32 v5, v5                                       // 000000004A4C: 7E0A4505
	v_rcp_f32_e32 v6, v6                                       // 000000004A50: 7E0C4506
	v_rcp_f32_e32 v7, v7                                       // 000000004A54: 7E0E4507
	v_mul_f32_e32 v88, v88, v4                                 // 000000004A58: 0AB00958
	v_mul_f32_e32 v89, v89, v5                                 // 000000004A5C: 0AB20B59
	v_mul_f32_e32 v90, v90, v6                                 // 000000004A60: 0AB40D5A
	v_mul_f32_e32 v91, v91, v7                                 // 000000004A64: 0AB60F5B
	v_mul_f32_e32 v88, v88, v136                               // 000000004A68: 0AB11158
	v_mul_f32_e32 v89, v89, v137                               // 000000004A6C: 0AB31359
	v_mul_f32_e32 v90, v90, v138                               // 000000004A70: 0AB5155A
	v_mul_f32_e32 v91, v91, v139                               // 000000004A74: 0AB7175B
	v_pk_mul_f32 v[4:5], v[92:93], v[92:93]                    // 000000004A78: D3B14004 1802B95C
	v_pk_mul_f32 v[6:7], v[94:95], v[94:95]                    // 000000004A80: D3B14006 1802BD5E
	v_pk_fma_f32 v[4:5], v[4:5], s[78:79], v[8:9]              // 000000004A88: D3B04004 1C209D04
	v_pk_fma_f32 v[6:7], v[6:7], s[78:79], v[8:9]              // 000000004A90: D3B04006 1C209D06
	v_pk_mul_f32 v[4:5], v[4:5], v[92:93]                      // 000000004A98: D3B14004 1802B904
	v_pk_mul_f32 v[6:7], v[6:7], v[94:95]                      // 000000004AA0: D3B14006 1802BD06
	v_pk_mul_f32 v[4:5], v[4:5], s[60:61]                      // 000000004AA8: D3B14004 18007904
	v_pk_mul_f32 v[6:7], v[6:7], s[60:61]                      // 000000004AB0: D3B14006 18007906
	v_exp_f32_e32 v4, v4                                       // 000000004AB8: 7E084104
	v_exp_f32_e32 v5, v5                                       // 000000004ABC: 7E0A4105
	v_exp_f32_e32 v6, v6                                       // 000000004AC0: 7E0C4106
	v_exp_f32_e32 v7, v7                                       // 000000004AC4: 7E0E4107
	v_add_f32_e64 v4, v4, 1.0                                  // 000000004AC8: D1010004 0001E504
	v_add_f32_e64 v5, v5, 1.0                                  // 000000004AD0: D1010005 0001E505
	v_add_f32_e64 v6, v6, 1.0                                  // 000000004AD8: D1010006 0001E506
	v_add_f32_e64 v7, v7, 1.0                                  // 000000004AE0: D1010007 0001E507
	v_rcp_f32_e32 v4, v4                                       // 000000004AE8: 7E084504
	v_rcp_f32_e32 v5, v5                                       // 000000004AEC: 7E0A4505
	v_rcp_f32_e32 v6, v6                                       // 000000004AF0: 7E0C4506
	v_rcp_f32_e32 v7, v7                                       // 000000004AF4: 7E0E4507
	v_mul_f32_e32 v92, v92, v4                                 // 000000004AF8: 0AB8095C
	v_mul_f32_e32 v93, v93, v5                                 // 000000004AFC: 0ABA0B5D
	v_mul_f32_e32 v94, v94, v6                                 // 000000004B00: 0ABC0D5E
	v_mul_f32_e32 v95, v95, v7                                 // 000000004B04: 0ABE0F5F
	v_mul_f32_e32 v92, v92, v140                               // 000000004B08: 0AB9195C
	v_mul_f32_e32 v93, v93, v141                               // 000000004B0C: 0ABB1B5D
	v_mul_f32_e32 v94, v94, v142                               // 000000004B10: 0ABD1D5E
	v_mul_f32_e32 v95, v95, v143                               // 000000004B14: 0ABF1F5F
	v_pk_mul_f32 v[4:5], v[96:97], v[96:97]                    // 000000004B18: D3B14004 1802C160
	v_pk_mul_f32 v[6:7], v[98:99], v[98:99]                    // 000000004B20: D3B14006 1802C562
	v_pk_fma_f32 v[4:5], v[4:5], s[78:79], v[8:9]              // 000000004B28: D3B04004 1C209D04
	v_pk_fma_f32 v[6:7], v[6:7], s[78:79], v[8:9]              // 000000004B30: D3B04006 1C209D06
	v_pk_mul_f32 v[4:5], v[4:5], v[96:97]                      // 000000004B38: D3B14004 1802C104
	v_pk_mul_f32 v[6:7], v[6:7], v[98:99]                      // 000000004B40: D3B14006 1802C506
	v_pk_mul_f32 v[4:5], v[4:5], s[60:61]                      // 000000004B48: D3B14004 18007904
	v_pk_mul_f32 v[6:7], v[6:7], s[60:61]                      // 000000004B50: D3B14006 18007906
	v_exp_f32_e32 v4, v4                                       // 000000004B58: 7E084104
	v_exp_f32_e32 v5, v5                                       // 000000004B5C: 7E0A4105
	v_exp_f32_e32 v6, v6                                       // 000000004B60: 7E0C4106
	v_exp_f32_e32 v7, v7                                       // 000000004B64: 7E0E4107
	v_add_f32_e64 v4, v4, 1.0                                  // 000000004B68: D1010004 0001E504
	v_add_f32_e64 v5, v5, 1.0                                  // 000000004B70: D1010005 0001E505
	v_add_f32_e64 v6, v6, 1.0                                  // 000000004B78: D1010006 0001E506
	v_add_f32_e64 v7, v7, 1.0                                  // 000000004B80: D1010007 0001E507
	v_rcp_f32_e32 v4, v4                                       // 000000004B88: 7E084504
	v_rcp_f32_e32 v5, v5                                       // 000000004B8C: 7E0A4505
	v_rcp_f32_e32 v6, v6                                       // 000000004B90: 7E0C4506
	v_rcp_f32_e32 v7, v7                                       // 000000004B94: 7E0E4507
	v_mul_f32_e32 v96, v96, v4                                 // 000000004B98: 0AC00960
	v_mul_f32_e32 v97, v97, v5                                 // 000000004B9C: 0AC20B61
	v_mul_f32_e32 v98, v98, v6                                 // 000000004BA0: 0AC40D62
	v_mul_f32_e32 v99, v99, v7                                 // 000000004BA4: 0AC60F63
	v_mul_f32_e32 v96, v96, v144                               // 000000004BA8: 0AC12160
	v_mul_f32_e32 v97, v97, v145                               // 000000004BAC: 0AC32361
	v_mul_f32_e32 v98, v98, v146                               // 000000004BB0: 0AC52562
	v_mul_f32_e32 v99, v99, v147                               // 000000004BB4: 0AC72763
	s_branch label_09EF                                        // 000000004BB8: BF820180

0000000000004bbc <label_086F>:
	v_mul_f32_e64 v4, -v52, s6                                 // 000000004BBC: D1050004 20000D34
	v_mul_f32_e64 v5, -v53, s6                                 // 000000004BC4: D1050005 20000D35
	v_mul_f32_e64 v6, -v54, s6                                 // 000000004BCC: D1050006 20000D36
	v_mul_f32_e64 v7, -v55, s6                                 // 000000004BD4: D1050007 20000D37
	v_exp_f32_e32 v4, v4                                       // 000000004BDC: 7E084104
	v_exp_f32_e32 v5, v5                                       // 000000004BE0: 7E0A4105
	v_exp_f32_e32 v6, v6                                       // 000000004BE4: 7E0C4106
	v_exp_f32_e32 v7, v7                                       // 000000004BE8: 7E0E4107
	v_add_f32_e64 v4, v4, 1.0                                  // 000000004BEC: D1010004 0001E504
	v_add_f32_e64 v5, v5, 1.0                                  // 000000004BF4: D1010005 0001E505
	v_add_f32_e64 v6, v6, 1.0                                  // 000000004BFC: D1010006 0001E506
	v_add_f32_e64 v7, v7, 1.0                                  // 000000004C04: D1010007 0001E507
	v_rcp_f32_e32 v4, v4                                       // 000000004C0C: 7E084504
	v_rcp_f32_e32 v5, v5                                       // 000000004C10: 7E0A4505
	v_rcp_f32_e32 v6, v6                                       // 000000004C14: 7E0C4506
	v_rcp_f32_e32 v7, v7                                       // 000000004C18: 7E0E4507
	v_mul_f32_e32 v52, v52, v4                                 // 000000004C1C: 0A680934
	v_mul_f32_e32 v53, v53, v5                                 // 000000004C20: 0A6A0B35
	v_mul_f32_e32 v54, v54, v6                                 // 000000004C24: 0A6C0D36
	v_mul_f32_e32 v55, v55, v7                                 // 000000004C28: 0A6E0F37
	v_mul_f32_e32 v52, v52, v100                               // 000000004C2C: 0A68C934
	v_mul_f32_e32 v53, v53, v101                               // 000000004C30: 0A6ACB35
	v_mul_f32_e32 v54, v54, v102                               // 000000004C34: 0A6CCD36
	v_mul_f32_e32 v55, v55, v103                               // 000000004C38: 0A6ECF37
	v_mul_f32_e64 v4, -v56, s6                                 // 000000004C3C: D1050004 20000D38
	v_mul_f32_e64 v5, -v57, s6                                 // 000000004C44: D1050005 20000D39
	v_mul_f32_e64 v6, -v58, s6                                 // 000000004C4C: D1050006 20000D3A
	v_mul_f32_e64 v7, -v59, s6                                 // 000000004C54: D1050007 20000D3B
	v_exp_f32_e32 v4, v4                                       // 000000004C5C: 7E084104
	v_exp_f32_e32 v5, v5                                       // 000000004C60: 7E0A4105
	v_exp_f32_e32 v6, v6                                       // 000000004C64: 7E0C4106
	v_exp_f32_e32 v7, v7                                       // 000000004C68: 7E0E4107
	v_add_f32_e64 v4, v4, 1.0                                  // 000000004C6C: D1010004 0001E504
	v_add_f32_e64 v5, v5, 1.0                                  // 000000004C74: D1010005 0001E505
	v_add_f32_e64 v6, v6, 1.0                                  // 000000004C7C: D1010006 0001E506
	v_add_f32_e64 v7, v7, 1.0                                  // 000000004C84: D1010007 0001E507
	v_rcp_f32_e32 v4, v4                                       // 000000004C8C: 7E084504
	v_rcp_f32_e32 v5, v5                                       // 000000004C90: 7E0A4505
	v_rcp_f32_e32 v6, v6                                       // 000000004C94: 7E0C4506
	v_rcp_f32_e32 v7, v7                                       // 000000004C98: 7E0E4507
	v_mul_f32_e32 v56, v56, v4                                 // 000000004C9C: 0A700938
	v_mul_f32_e32 v57, v57, v5                                 // 000000004CA0: 0A720B39
	v_mul_f32_e32 v58, v58, v6                                 // 000000004CA4: 0A740D3A
	v_mul_f32_e32 v59, v59, v7                                 // 000000004CA8: 0A760F3B
	v_mul_f32_e32 v56, v56, v104                               // 000000004CAC: 0A70D138
	v_mul_f32_e32 v57, v57, v105                               // 000000004CB0: 0A72D339
	v_mul_f32_e32 v58, v58, v106                               // 000000004CB4: 0A74D53A
	v_mul_f32_e32 v59, v59, v107                               // 000000004CB8: 0A76D73B
	v_mul_f32_e64 v4, -v60, s6                                 // 000000004CBC: D1050004 20000D3C
	v_mul_f32_e64 v5, -v61, s6                                 // 000000004CC4: D1050005 20000D3D
	v_mul_f32_e64 v6, -v62, s6                                 // 000000004CCC: D1050006 20000D3E
	v_mul_f32_e64 v7, -v63, s6                                 // 000000004CD4: D1050007 20000D3F
	v_exp_f32_e32 v4, v4                                       // 000000004CDC: 7E084104
	v_exp_f32_e32 v5, v5                                       // 000000004CE0: 7E0A4105
	v_exp_f32_e32 v6, v6                                       // 000000004CE4: 7E0C4106
	v_exp_f32_e32 v7, v7                                       // 000000004CE8: 7E0E4107
	v_add_f32_e64 v4, v4, 1.0                                  // 000000004CEC: D1010004 0001E504
	v_add_f32_e64 v5, v5, 1.0                                  // 000000004CF4: D1010005 0001E505
	v_add_f32_e64 v6, v6, 1.0                                  // 000000004CFC: D1010006 0001E506
	v_add_f32_e64 v7, v7, 1.0                                  // 000000004D04: D1010007 0001E507
	v_rcp_f32_e32 v4, v4                                       // 000000004D0C: 7E084504
	v_rcp_f32_e32 v5, v5                                       // 000000004D10: 7E0A4505
	v_rcp_f32_e32 v6, v6                                       // 000000004D14: 7E0C4506
	v_rcp_f32_e32 v7, v7                                       // 000000004D18: 7E0E4507
	v_mul_f32_e32 v60, v60, v4                                 // 000000004D1C: 0A78093C
	v_mul_f32_e32 v61, v61, v5                                 // 000000004D20: 0A7A0B3D
	v_mul_f32_e32 v62, v62, v6                                 // 000000004D24: 0A7C0D3E
	v_mul_f32_e32 v63, v63, v7                                 // 000000004D28: 0A7E0F3F
	v_mul_f32_e32 v60, v60, v108                               // 000000004D2C: 0A78D93C
	v_mul_f32_e32 v61, v61, v109                               // 000000004D30: 0A7ADB3D
	v_mul_f32_e32 v62, v62, v110                               // 000000004D34: 0A7CDD3E
	v_mul_f32_e32 v63, v63, v111                               // 000000004D38: 0A7EDF3F
	v_mul_f32_e64 v4, -v64, s6                                 // 000000004D3C: D1050004 20000D40
	v_mul_f32_e64 v5, -v65, s6                                 // 000000004D44: D1050005 20000D41
	v_mul_f32_e64 v6, -v66, s6                                 // 000000004D4C: D1050006 20000D42
	v_mul_f32_e64 v7, -v67, s6                                 // 000000004D54: D1050007 20000D43
	v_exp_f32_e32 v4, v4                                       // 000000004D5C: 7E084104
	v_exp_f32_e32 v5, v5                                       // 000000004D60: 7E0A4105
	v_exp_f32_e32 v6, v6                                       // 000000004D64: 7E0C4106
	v_exp_f32_e32 v7, v7                                       // 000000004D68: 7E0E4107
	v_add_f32_e64 v4, v4, 1.0                                  // 000000004D6C: D1010004 0001E504
	v_add_f32_e64 v5, v5, 1.0                                  // 000000004D74: D1010005 0001E505
	v_add_f32_e64 v6, v6, 1.0                                  // 000000004D7C: D1010006 0001E506
	v_add_f32_e64 v7, v7, 1.0                                  // 000000004D84: D1010007 0001E507
	v_rcp_f32_e32 v4, v4                                       // 000000004D8C: 7E084504
	v_rcp_f32_e32 v5, v5                                       // 000000004D90: 7E0A4505
	v_rcp_f32_e32 v6, v6                                       // 000000004D94: 7E0C4506
	v_rcp_f32_e32 v7, v7                                       // 000000004D98: 7E0E4507
	v_mul_f32_e32 v64, v64, v4                                 // 000000004D9C: 0A800940
	v_mul_f32_e32 v65, v65, v5                                 // 000000004DA0: 0A820B41
	v_mul_f32_e32 v66, v66, v6                                 // 000000004DA4: 0A840D42
	v_mul_f32_e32 v67, v67, v7                                 // 000000004DA8: 0A860F43
	v_mul_f32_e32 v64, v64, v112                               // 000000004DAC: 0A80E140
	v_mul_f32_e32 v65, v65, v113                               // 000000004DB0: 0A82E341
	v_mul_f32_e32 v66, v66, v114                               // 000000004DB4: 0A84E542
	v_mul_f32_e32 v67, v67, v115                               // 000000004DB8: 0A86E743
	v_mul_f32_e64 v4, -v68, s6                                 // 000000004DBC: D1050004 20000D44
	v_mul_f32_e64 v5, -v69, s6                                 // 000000004DC4: D1050005 20000D45
	v_mul_f32_e64 v6, -v70, s6                                 // 000000004DCC: D1050006 20000D46
	v_mul_f32_e64 v7, -v71, s6                                 // 000000004DD4: D1050007 20000D47
	v_exp_f32_e32 v4, v4                                       // 000000004DDC: 7E084104
	v_exp_f32_e32 v5, v5                                       // 000000004DE0: 7E0A4105
	v_exp_f32_e32 v6, v6                                       // 000000004DE4: 7E0C4106
	v_exp_f32_e32 v7, v7                                       // 000000004DE8: 7E0E4107
	v_add_f32_e64 v4, v4, 1.0                                  // 000000004DEC: D1010004 0001E504
	v_add_f32_e64 v5, v5, 1.0                                  // 000000004DF4: D1010005 0001E505
	v_add_f32_e64 v6, v6, 1.0                                  // 000000004DFC: D1010006 0001E506
	v_add_f32_e64 v7, v7, 1.0                                  // 000000004E04: D1010007 0001E507
	v_rcp_f32_e32 v4, v4                                       // 000000004E0C: 7E084504
	v_rcp_f32_e32 v5, v5                                       // 000000004E10: 7E0A4505
	v_rcp_f32_e32 v6, v6                                       // 000000004E14: 7E0C4506
	v_rcp_f32_e32 v7, v7                                       // 000000004E18: 7E0E4507
	v_mul_f32_e32 v68, v68, v4                                 // 000000004E1C: 0A880944
	v_mul_f32_e32 v69, v69, v5                                 // 000000004E20: 0A8A0B45
	v_mul_f32_e32 v70, v70, v6                                 // 000000004E24: 0A8C0D46
	v_mul_f32_e32 v71, v71, v7                                 // 000000004E28: 0A8E0F47
	v_mul_f32_e32 v68, v68, v116                               // 000000004E2C: 0A88E944
	v_mul_f32_e32 v69, v69, v117                               // 000000004E30: 0A8AEB45
	v_mul_f32_e32 v70, v70, v118                               // 000000004E34: 0A8CED46
	v_mul_f32_e32 v71, v71, v119                               // 000000004E38: 0A8EEF47
	v_mul_f32_e64 v4, -v72, s6                                 // 000000004E3C: D1050004 20000D48
	v_mul_f32_e64 v5, -v73, s6                                 // 000000004E44: D1050005 20000D49
	v_mul_f32_e64 v6, -v74, s6                                 // 000000004E4C: D1050006 20000D4A
	v_mul_f32_e64 v7, -v75, s6                                 // 000000004E54: D1050007 20000D4B
	v_exp_f32_e32 v4, v4                                       // 000000004E5C: 7E084104
	v_exp_f32_e32 v5, v5                                       // 000000004E60: 7E0A4105
	v_exp_f32_e32 v6, v6                                       // 000000004E64: 7E0C4106
	v_exp_f32_e32 v7, v7                                       // 000000004E68: 7E0E4107
	v_add_f32_e64 v4, v4, 1.0                                  // 000000004E6C: D1010004 0001E504
	v_add_f32_e64 v5, v5, 1.0                                  // 000000004E74: D1010005 0001E505
	v_add_f32_e64 v6, v6, 1.0                                  // 000000004E7C: D1010006 0001E506
	v_add_f32_e64 v7, v7, 1.0                                  // 000000004E84: D1010007 0001E507
	v_rcp_f32_e32 v4, v4                                       // 000000004E8C: 7E084504
	v_rcp_f32_e32 v5, v5                                       // 000000004E90: 7E0A4505
	v_rcp_f32_e32 v6, v6                                       // 000000004E94: 7E0C4506
	v_rcp_f32_e32 v7, v7                                       // 000000004E98: 7E0E4507
	v_mul_f32_e32 v72, v72, v4                                 // 000000004E9C: 0A900948
	v_mul_f32_e32 v73, v73, v5                                 // 000000004EA0: 0A920B49
	v_mul_f32_e32 v74, v74, v6                                 // 000000004EA4: 0A940D4A
	v_mul_f32_e32 v75, v75, v7                                 // 000000004EA8: 0A960F4B
	v_mul_f32_e32 v72, v72, v120                               // 000000004EAC: 0A90F148
	v_mul_f32_e32 v73, v73, v121                               // 000000004EB0: 0A92F349
	v_mul_f32_e32 v74, v74, v122                               // 000000004EB4: 0A94F54A
	v_mul_f32_e32 v75, v75, v123                               // 000000004EB8: 0A96F74B
	v_mul_f32_e64 v4, -v76, s6                                 // 000000004EBC: D1050004 20000D4C
	v_mul_f32_e64 v5, -v77, s6                                 // 000000004EC4: D1050005 20000D4D
	v_mul_f32_e64 v6, -v78, s6                                 // 000000004ECC: D1050006 20000D4E
	v_mul_f32_e64 v7, -v79, s6                                 // 000000004ED4: D1050007 20000D4F
	v_exp_f32_e32 v4, v4                                       // 000000004EDC: 7E084104
	v_exp_f32_e32 v5, v5                                       // 000000004EE0: 7E0A4105
	v_exp_f32_e32 v6, v6                                       // 000000004EE4: 7E0C4106
	v_exp_f32_e32 v7, v7                                       // 000000004EE8: 7E0E4107
	v_add_f32_e64 v4, v4, 1.0                                  // 000000004EEC: D1010004 0001E504
	v_add_f32_e64 v5, v5, 1.0                                  // 000000004EF4: D1010005 0001E505
	v_add_f32_e64 v6, v6, 1.0                                  // 000000004EFC: D1010006 0001E506
	v_add_f32_e64 v7, v7, 1.0                                  // 000000004F04: D1010007 0001E507
	v_rcp_f32_e32 v4, v4                                       // 000000004F0C: 7E084504
	v_rcp_f32_e32 v5, v5                                       // 000000004F10: 7E0A4505
	v_rcp_f32_e32 v6, v6                                       // 000000004F14: 7E0C4506
	v_rcp_f32_e32 v7, v7                                       // 000000004F18: 7E0E4507
	v_mul_f32_e32 v76, v76, v4                                 // 000000004F1C: 0A98094C
	v_mul_f32_e32 v77, v77, v5                                 // 000000004F20: 0A9A0B4D
	v_mul_f32_e32 v78, v78, v6                                 // 000000004F24: 0A9C0D4E
	v_mul_f32_e32 v79, v79, v7                                 // 000000004F28: 0A9E0F4F
	v_mul_f32_e32 v76, v76, v124                               // 000000004F2C: 0A98F94C
	v_mul_f32_e32 v77, v77, v125                               // 000000004F30: 0A9AFB4D
	v_mul_f32_e32 v78, v78, v126                               // 000000004F34: 0A9CFD4E
	v_mul_f32_e32 v79, v79, v127                               // 000000004F38: 0A9EFF4F
	v_mul_f32_e64 v4, -v80, s6                                 // 000000004F3C: D1050004 20000D50
	v_mul_f32_e64 v5, -v81, s6                                 // 000000004F44: D1050005 20000D51
	v_mul_f32_e64 v6, -v82, s6                                 // 000000004F4C: D1050006 20000D52
	v_mul_f32_e64 v7, -v83, s6                                 // 000000004F54: D1050007 20000D53
	v_exp_f32_e32 v4, v4                                       // 000000004F5C: 7E084104
	v_exp_f32_e32 v5, v5                                       // 000000004F60: 7E0A4105
	v_exp_f32_e32 v6, v6                                       // 000000004F64: 7E0C4106
	v_exp_f32_e32 v7, v7                                       // 000000004F68: 7E0E4107
	v_add_f32_e64 v4, v4, 1.0                                  // 000000004F6C: D1010004 0001E504
	v_add_f32_e64 v5, v5, 1.0                                  // 000000004F74: D1010005 0001E505
	v_add_f32_e64 v6, v6, 1.0                                  // 000000004F7C: D1010006 0001E506
	v_add_f32_e64 v7, v7, 1.0                                  // 000000004F84: D1010007 0001E507
	v_rcp_f32_e32 v4, v4                                       // 000000004F8C: 7E084504
	v_rcp_f32_e32 v5, v5                                       // 000000004F90: 7E0A4505
	v_rcp_f32_e32 v6, v6                                       // 000000004F94: 7E0C4506
	v_rcp_f32_e32 v7, v7                                       // 000000004F98: 7E0E4507
	v_mul_f32_e32 v80, v80, v4                                 // 000000004F9C: 0AA00950
	v_mul_f32_e32 v81, v81, v5                                 // 000000004FA0: 0AA20B51
	v_mul_f32_e32 v82, v82, v6                                 // 000000004FA4: 0AA40D52
	v_mul_f32_e32 v83, v83, v7                                 // 000000004FA8: 0AA60F53
	v_mul_f32_e32 v80, v80, v128                               // 000000004FAC: 0AA10150
	v_mul_f32_e32 v81, v81, v129                               // 000000004FB0: 0AA30351
	v_mul_f32_e32 v82, v82, v130                               // 000000004FB4: 0AA50552
	v_mul_f32_e32 v83, v83, v131                               // 000000004FB8: 0AA70753
	v_mul_f32_e64 v4, -v84, s6                                 // 000000004FBC: D1050004 20000D54
	v_mul_f32_e64 v5, -v85, s6                                 // 000000004FC4: D1050005 20000D55
	v_mul_f32_e64 v6, -v86, s6                                 // 000000004FCC: D1050006 20000D56
	v_mul_f32_e64 v7, -v87, s6                                 // 000000004FD4: D1050007 20000D57
	v_exp_f32_e32 v4, v4                                       // 000000004FDC: 7E084104
	v_exp_f32_e32 v5, v5                                       // 000000004FE0: 7E0A4105
	v_exp_f32_e32 v6, v6                                       // 000000004FE4: 7E0C4106
	v_exp_f32_e32 v7, v7                                       // 000000004FE8: 7E0E4107
	v_add_f32_e64 v4, v4, 1.0                                  // 000000004FEC: D1010004 0001E504
	v_add_f32_e64 v5, v5, 1.0                                  // 000000004FF4: D1010005 0001E505
	v_add_f32_e64 v6, v6, 1.0                                  // 000000004FFC: D1010006 0001E506
	v_add_f32_e64 v7, v7, 1.0                                  // 000000005004: D1010007 0001E507
	v_rcp_f32_e32 v4, v4                                       // 00000000500C: 7E084504
	v_rcp_f32_e32 v5, v5                                       // 000000005010: 7E0A4505
	v_rcp_f32_e32 v6, v6                                       // 000000005014: 7E0C4506
	v_rcp_f32_e32 v7, v7                                       // 000000005018: 7E0E4507
	v_mul_f32_e32 v84, v84, v4                                 // 00000000501C: 0AA80954
	v_mul_f32_e32 v85, v85, v5                                 // 000000005020: 0AAA0B55
	v_mul_f32_e32 v86, v86, v6                                 // 000000005024: 0AAC0D56
	v_mul_f32_e32 v87, v87, v7                                 // 000000005028: 0AAE0F57
	v_mul_f32_e32 v84, v84, v132                               // 00000000502C: 0AA90954
	v_mul_f32_e32 v85, v85, v133                               // 000000005030: 0AAB0B55
	v_mul_f32_e32 v86, v86, v134                               // 000000005034: 0AAD0D56
	v_mul_f32_e32 v87, v87, v135                               // 000000005038: 0AAF0F57
	v_mul_f32_e64 v4, -v88, s6                                 // 00000000503C: D1050004 20000D58
	v_mul_f32_e64 v5, -v89, s6                                 // 000000005044: D1050005 20000D59
	v_mul_f32_e64 v6, -v90, s6                                 // 00000000504C: D1050006 20000D5A
	v_mul_f32_e64 v7, -v91, s6                                 // 000000005054: D1050007 20000D5B
	v_exp_f32_e32 v4, v4                                       // 00000000505C: 7E084104
	v_exp_f32_e32 v5, v5                                       // 000000005060: 7E0A4105
	v_exp_f32_e32 v6, v6                                       // 000000005064: 7E0C4106
	v_exp_f32_e32 v7, v7                                       // 000000005068: 7E0E4107
	v_add_f32_e64 v4, v4, 1.0                                  // 00000000506C: D1010004 0001E504
	v_add_f32_e64 v5, v5, 1.0                                  // 000000005074: D1010005 0001E505
	v_add_f32_e64 v6, v6, 1.0                                  // 00000000507C: D1010006 0001E506
	v_add_f32_e64 v7, v7, 1.0                                  // 000000005084: D1010007 0001E507
	v_rcp_f32_e32 v4, v4                                       // 00000000508C: 7E084504
	v_rcp_f32_e32 v5, v5                                       // 000000005090: 7E0A4505
	v_rcp_f32_e32 v6, v6                                       // 000000005094: 7E0C4506
	v_rcp_f32_e32 v7, v7                                       // 000000005098: 7E0E4507
	v_mul_f32_e32 v88, v88, v4                                 // 00000000509C: 0AB00958
	v_mul_f32_e32 v89, v89, v5                                 // 0000000050A0: 0AB20B59
	v_mul_f32_e32 v90, v90, v6                                 // 0000000050A4: 0AB40D5A
	v_mul_f32_e32 v91, v91, v7                                 // 0000000050A8: 0AB60F5B
	v_mul_f32_e32 v88, v88, v136                               // 0000000050AC: 0AB11158
	v_mul_f32_e32 v89, v89, v137                               // 0000000050B0: 0AB31359
	v_mul_f32_e32 v90, v90, v138                               // 0000000050B4: 0AB5155A
	v_mul_f32_e32 v91, v91, v139                               // 0000000050B8: 0AB7175B
	v_mul_f32_e64 v4, -v92, s6                                 // 0000000050BC: D1050004 20000D5C
	v_mul_f32_e64 v5, -v93, s6                                 // 0000000050C4: D1050005 20000D5D
	v_mul_f32_e64 v6, -v94, s6                                 // 0000000050CC: D1050006 20000D5E
	v_mul_f32_e64 v7, -v95, s6                                 // 0000000050D4: D1050007 20000D5F
	v_exp_f32_e32 v4, v4                                       // 0000000050DC: 7E084104
	v_exp_f32_e32 v5, v5                                       // 0000000050E0: 7E0A4105
	v_exp_f32_e32 v6, v6                                       // 0000000050E4: 7E0C4106
	v_exp_f32_e32 v7, v7                                       // 0000000050E8: 7E0E4107
	v_add_f32_e64 v4, v4, 1.0                                  // 0000000050EC: D1010004 0001E504
	v_add_f32_e64 v5, v5, 1.0                                  // 0000000050F4: D1010005 0001E505
	v_add_f32_e64 v6, v6, 1.0                                  // 0000000050FC: D1010006 0001E506
	v_add_f32_e64 v7, v7, 1.0                                  // 000000005104: D1010007 0001E507
	v_rcp_f32_e32 v4, v4                                       // 00000000510C: 7E084504
	v_rcp_f32_e32 v5, v5                                       // 000000005110: 7E0A4505
	v_rcp_f32_e32 v6, v6                                       // 000000005114: 7E0C4506
	v_rcp_f32_e32 v7, v7                                       // 000000005118: 7E0E4507
	v_mul_f32_e32 v92, v92, v4                                 // 00000000511C: 0AB8095C
	v_mul_f32_e32 v93, v93, v5                                 // 000000005120: 0ABA0B5D
	v_mul_f32_e32 v94, v94, v6                                 // 000000005124: 0ABC0D5E
	v_mul_f32_e32 v95, v95, v7                                 // 000000005128: 0ABE0F5F
	v_mul_f32_e32 v92, v92, v140                               // 00000000512C: 0AB9195C
	v_mul_f32_e32 v93, v93, v141                               // 000000005130: 0ABB1B5D
	v_mul_f32_e32 v94, v94, v142                               // 000000005134: 0ABD1D5E
	v_mul_f32_e32 v95, v95, v143                               // 000000005138: 0ABF1F5F
	v_mul_f32_e64 v4, -v96, s6                                 // 00000000513C: D1050004 20000D60
	v_mul_f32_e64 v5, -v97, s6                                 // 000000005144: D1050005 20000D61
	v_mul_f32_e64 v6, -v98, s6                                 // 00000000514C: D1050006 20000D62
	v_mul_f32_e64 v7, -v99, s6                                 // 000000005154: D1050007 20000D63
	v_exp_f32_e32 v4, v4                                       // 00000000515C: 7E084104
	v_exp_f32_e32 v5, v5                                       // 000000005160: 7E0A4105
	v_exp_f32_e32 v6, v6                                       // 000000005164: 7E0C4106
	v_exp_f32_e32 v7, v7                                       // 000000005168: 7E0E4107
	v_add_f32_e64 v4, v4, 1.0                                  // 00000000516C: D1010004 0001E504
	v_add_f32_e64 v5, v5, 1.0                                  // 000000005174: D1010005 0001E505
	v_add_f32_e64 v6, v6, 1.0                                  // 00000000517C: D1010006 0001E506
	v_add_f32_e64 v7, v7, 1.0                                  // 000000005184: D1010007 0001E507
	v_rcp_f32_e32 v4, v4                                       // 00000000518C: 7E084504
	v_rcp_f32_e32 v5, v5                                       // 000000005190: 7E0A4505
	v_rcp_f32_e32 v6, v6                                       // 000000005194: 7E0C4506
	v_rcp_f32_e32 v7, v7                                       // 000000005198: 7E0E4507
	v_mul_f32_e32 v96, v96, v4                                 // 00000000519C: 0AC00960
	v_mul_f32_e32 v97, v97, v5                                 // 0000000051A0: 0AC20B61
	v_mul_f32_e32 v98, v98, v6                                 // 0000000051A4: 0AC40D62
	v_mul_f32_e32 v99, v99, v7                                 // 0000000051A8: 0AC60F63
	v_mul_f32_e32 v96, v96, v144                               // 0000000051AC: 0AC12160
	v_mul_f32_e32 v97, v97, v145                               // 0000000051B0: 0AC32361
	v_mul_f32_e32 v98, v98, v146                               // 0000000051B4: 0AC52562
	v_mul_f32_e32 v99, v99, v147                               // 0000000051B8: 0AC72763

00000000000051bc <label_09EF>:
	s_cmp_eq_u32 s7, 0                                         // 0000000051BC: BF068007
	s_cbranch_scc0 label_09FC                                  // 0000000051C0: BF84000B
	v_and_b32_e32 v4, 15, v0                                   // 0000000051C4: 2608008F
	v_lshlrev_b32_e32 v4, 2, v4                                // 0000000051C8: 24080882
	buffer_load_dword v28, v4, s[12:15], 0 offen               // 0000000051CC: E0501000 80031C04
	v_add_u32_e32 v4, 64, v4                                   // 0000000051D4: 680808C0
	buffer_load_dword v29, v4, s[12:15], 0 offen               // 0000000051D8: E0501000 80031D04
	v_add_u32_e32 v4, 64, v4                                   // 0000000051E0: 680808C0
	buffer_load_dword v30, v4, s[12:15], 0 offen               // 0000000051E4: E0501000 80031E04
	v_add_u32_e32 v4, 64, v4                                   // 0000000051EC: 680808C0

00000000000051f0 <label_09FC>:
	v_lshlrev_b32_e32 v4, 2, v0                                // 0000000051F0: 24080082
	s_mul_i32 s60, 0x100, s7                                   // 0000000051F4: 923C07FF 00000100
	v_add_u32_e32 v106, s60, v4                                // 0000000051FC: 68D4083C
	v_and_b32_e32 v4, 15, v0                                   // 000000005200: 2608008F
	v_lshlrev_b32_e32 v107, 2, v4                              // 000000005204: 24D60882
	s_waitcnt lgkmcnt(0)                                       // 000000005208: BF8CC07F
	s_barrier                                                  // 00000000520C: BF8A0000
	v_mov_b32_e32 v100, 0x358637bd                             // 000000005210: 7EC802FF 358637BD
	v_max3_f32 v100, |v52|, |v53|, v100                        // 000000005218: D1D30364 05926B34
	v_max3_f32 v100, |v54|, |v55|, v100                        // 000000005220: D1D30364 05926F36
	v_max3_f32 v100, |v64|, |v65|, v100                        // 000000005228: D1D30364 05928340
	v_max3_f32 v100, |v66|, |v67|, v100                        // 000000005230: D1D30364 05928742
	ds_write_b32 v106, v100                                    // 000000005238: D81A0000 0000646A
	s_waitcnt lgkmcnt(0)                                       // 000000005240: BF8CC07F
	s_barrier                                                  // 000000005244: BF8A0000
	ds_read_b32 v4, v107                                       // 000000005248: D86C0000 0400006B
	ds_read_b32 v5, v107 offset:64                             // 000000005250: D86C0040 0500006B
	ds_read_b32 v6, v107 offset:128                            // 000000005258: D86C0080 0600006B
	ds_read_b32 v7, v107 offset:192                            // 000000005260: D86C00C0 0700006B
	ds_read_b32 v8, v107 offset:256                            // 000000005268: D86C0100 0800006B
	ds_read_b32 v9, v107 offset:320                            // 000000005270: D86C0140 0900006B
	ds_read_b32 v10, v107 offset:384                           // 000000005278: D86C0180 0A00006B
	ds_read_b32 v11, v107 offset:448                           // 000000005280: D86C01C0 0B00006B
	ds_read_b32 v12, v107 offset:512                           // 000000005288: D86C0200 0C00006B
	ds_read_b32 v13, v107 offset:576                           // 000000005290: D86C0240 0D00006B
	ds_read_b32 v14, v107 offset:640                           // 000000005298: D86C0280 0E00006B
	ds_read_b32 v15, v107 offset:704                           // 0000000052A0: D86C02C0 0F00006B
	ds_read_b32 v16, v107 offset:768                           // 0000000052A8: D86C0300 1000006B
	ds_read_b32 v17, v107 offset:832                           // 0000000052B0: D86C0340 1100006B
	ds_read_b32 v18, v107 offset:896                           // 0000000052B8: D86C0380 1200006B
	ds_read_b32 v19, v107 offset:960                           // 0000000052C0: D86C03C0 1300006B
	s_waitcnt lgkmcnt(0)                                       // 0000000052C8: BF8CC07F
	s_barrier                                                  // 0000000052CC: BF8A0000
	v_max3_f32 v100, |v4|, |v5|, v100                          // 0000000052D0: D1D30364 05920B04
	v_max3_f32 v100, |v6|, |v7|, v100                          // 0000000052D8: D1D30364 05920F06
	v_max3_f32 v100, |v8|, |v9|, v100                          // 0000000052E0: D1D30364 05921308
	v_max3_f32 v100, |v10|, |v11|, v100                        // 0000000052E8: D1D30364 0592170A
	v_max3_f32 v100, |v12|, |v13|, v100                        // 0000000052F0: D1D30364 05921B0C
	v_max3_f32 v100, |v14|, |v15|, v100                        // 0000000052F8: D1D30364 05921F0E
	v_max3_f32 v100, |v16|, |v17|, v100                        // 000000005300: D1D30364 05922310
	v_max3_f32 v100, |v18|, |v19|, v100                        // 000000005308: D1D30364 05922712
	v_rcp_f32_e32 v100, v100                                   // 000000005310: 7EC84564
	v_mov_b32_e32 v4, 0x43700000                               // 000000005314: 7E0802FF 43700000
	v_mul_f32_e32 v100, v4, v100                               // 00000000531C: 0AC8C904
	v_mov_b32_e32 v4, v100                                     // 000000005320: 7E080364
	v_mov_b32_e32 v5, v4                                       // 000000005324: 7E0A0304
	v_pk_mul_f32 v[52:53], v[4:5], v[52:53]                    // 000000005328: D3B14034 18026904
	v_pk_mul_f32 v[54:55], v[4:5], v[54:55]                    // 000000005330: D3B14036 18026D04
	v_cvt_pk_fp8_f32 v52, v52, v53                             // 000000005338: D2A20034 00026B34
	v_cvt_pk_fp8_f32 v52, v54, v55 op_sel:[0,0,1]              // 000000005340: D2A24034 00026F36
	v_pk_mul_f32 v[64:65], v[4:5], v[64:65]                    // 000000005348: D3B14040 18028104
	v_pk_mul_f32 v[66:67], v[4:5], v[66:67]                    // 000000005350: D3B14042 18028504
	v_cvt_pk_fp8_f32 v64, v64, v65                             // 000000005358: D2A20040 00028340
	v_cvt_pk_fp8_f32 v64, v66, v67 op_sel:[0,0,1]              // 000000005360: D2A24040 00028742
	v_rcp_f32_e32 v100, v100                                   // 000000005368: 7EC84564
	v_mov_b32_e32 v103, 0x358637bd                             // 00000000536C: 7ECE02FF 358637BD
	v_max3_f32 v103, |v76|, |v77|, v103                        // 000000005374: D1D30367 059E9B4C
	v_max3_f32 v103, |v78|, |v79|, v103                        // 00000000537C: D1D30367 059E9F4E
	v_max3_f32 v103, |v88|, |v89|, v103                        // 000000005384: D1D30367 059EB358
	v_max3_f32 v103, |v90|, |v91|, v103                        // 00000000538C: D1D30367 059EB75A
	ds_write_b32 v106, v103                                    // 000000005394: D81A0000 0000676A
	s_waitcnt lgkmcnt(0)                                       // 00000000539C: BF8CC07F
	s_barrier                                                  // 0000000053A0: BF8A0000
	ds_read_b32 v4, v107                                       // 0000000053A4: D86C0000 0400006B
	ds_read_b32 v5, v107 offset:64                             // 0000000053AC: D86C0040 0500006B
	ds_read_b32 v6, v107 offset:128                            // 0000000053B4: D86C0080 0600006B
	ds_read_b32 v7, v107 offset:192                            // 0000000053BC: D86C00C0 0700006B
	ds_read_b32 v8, v107 offset:256                            // 0000000053C4: D86C0100 0800006B
	ds_read_b32 v9, v107 offset:320                            // 0000000053CC: D86C0140 0900006B
	ds_read_b32 v10, v107 offset:384                           // 0000000053D4: D86C0180 0A00006B
	ds_read_b32 v11, v107 offset:448                           // 0000000053DC: D86C01C0 0B00006B
	ds_read_b32 v12, v107 offset:512                           // 0000000053E4: D86C0200 0C00006B
	ds_read_b32 v13, v107 offset:576                           // 0000000053EC: D86C0240 0D00006B
	ds_read_b32 v14, v107 offset:640                           // 0000000053F4: D86C0280 0E00006B
	ds_read_b32 v15, v107 offset:704                           // 0000000053FC: D86C02C0 0F00006B
	ds_read_b32 v16, v107 offset:768                           // 000000005404: D86C0300 1000006B
	ds_read_b32 v17, v107 offset:832                           // 00000000540C: D86C0340 1100006B
	ds_read_b32 v18, v107 offset:896                           // 000000005414: D86C0380 1200006B
	ds_read_b32 v19, v107 offset:960                           // 00000000541C: D86C03C0 1300006B
	s_waitcnt lgkmcnt(0)                                       // 000000005424: BF8CC07F
	s_barrier                                                  // 000000005428: BF8A0000
	v_max3_f32 v103, |v4|, |v5|, v103                          // 00000000542C: D1D30367 059E0B04
	v_max3_f32 v103, |v6|, |v7|, v103                          // 000000005434: D1D30367 059E0F06
	v_max3_f32 v103, |v8|, |v9|, v103                          // 00000000543C: D1D30367 059E1308
	v_max3_f32 v103, |v10|, |v11|, v103                        // 000000005444: D1D30367 059E170A
	v_max3_f32 v103, |v12|, |v13|, v103                        // 00000000544C: D1D30367 059E1B0C
	v_max3_f32 v103, |v14|, |v15|, v103                        // 000000005454: D1D30367 059E1F0E
	v_max3_f32 v103, |v16|, |v17|, v103                        // 00000000545C: D1D30367 059E2310
	v_max3_f32 v103, |v18|, |v19|, v103                        // 000000005464: D1D30367 059E2712
	v_rcp_f32_e32 v103, v103                                   // 00000000546C: 7ECE4567
	v_mov_b32_e32 v4, 0x43700000                               // 000000005470: 7E0802FF 43700000
	v_mul_f32_e32 v103, v4, v103                               // 000000005478: 0ACECF04
	v_mov_b32_e32 v4, v103                                     // 00000000547C: 7E080367
	v_mov_b32_e32 v5, v4                                       // 000000005480: 7E0A0304
	v_pk_mul_f32 v[76:77], v[4:5], v[76:77]                    // 000000005484: D3B1404C 18029904
	v_pk_mul_f32 v[78:79], v[4:5], v[78:79]                    // 00000000548C: D3B1404E 18029D04
	v_cvt_pk_fp8_f32 v76, v76, v77                             // 000000005494: D2A2004C 00029B4C
	v_cvt_pk_fp8_f32 v76, v78, v79 op_sel:[0,0,1]              // 00000000549C: D2A2404C 00029F4E
	v_pk_mul_f32 v[88:89], v[4:5], v[88:89]                    // 0000000054A4: D3B14058 1802B104
	v_pk_mul_f32 v[90:91], v[4:5], v[90:91]                    // 0000000054AC: D3B1405A 1802B504
	v_cvt_pk_fp8_f32 v88, v88, v89                             // 0000000054B4: D2A20058 0002B358
	v_cvt_pk_fp8_f32 v88, v90, v91 op_sel:[0,0,1]              // 0000000054BC: D2A24058 0002B75A
	v_rcp_f32_e32 v103, v103                                   // 0000000054C4: 7ECE4567
	v_mov_b32_e32 v101, 0x358637bd                             // 0000000054C8: 7ECA02FF 358637BD
	v_max3_f32 v101, |v56|, |v57|, v101                        // 0000000054D0: D1D30365 05967338
	v_max3_f32 v101, |v58|, |v59|, v101                        // 0000000054D8: D1D30365 0596773A
	v_max3_f32 v101, |v68|, |v69|, v101                        // 0000000054E0: D1D30365 05968B44
	v_max3_f32 v101, |v70|, |v71|, v101                        // 0000000054E8: D1D30365 05968F46
	ds_write_b32 v106, v101                                    // 0000000054F0: D81A0000 0000656A
	s_waitcnt lgkmcnt(0)                                       // 0000000054F8: BF8CC07F
	s_barrier                                                  // 0000000054FC: BF8A0000
	ds_read_b32 v4, v107                                       // 000000005500: D86C0000 0400006B
	ds_read_b32 v5, v107 offset:64                             // 000000005508: D86C0040 0500006B
	ds_read_b32 v6, v107 offset:128                            // 000000005510: D86C0080 0600006B
	ds_read_b32 v7, v107 offset:192                            // 000000005518: D86C00C0 0700006B
	ds_read_b32 v8, v107 offset:256                            // 000000005520: D86C0100 0800006B
	ds_read_b32 v9, v107 offset:320                            // 000000005528: D86C0140 0900006B
	ds_read_b32 v10, v107 offset:384                           // 000000005530: D86C0180 0A00006B
	ds_read_b32 v11, v107 offset:448                           // 000000005538: D86C01C0 0B00006B
	ds_read_b32 v12, v107 offset:512                           // 000000005540: D86C0200 0C00006B
	ds_read_b32 v13, v107 offset:576                           // 000000005548: D86C0240 0D00006B
	ds_read_b32 v14, v107 offset:640                           // 000000005550: D86C0280 0E00006B
	ds_read_b32 v15, v107 offset:704                           // 000000005558: D86C02C0 0F00006B
	ds_read_b32 v16, v107 offset:768                           // 000000005560: D86C0300 1000006B
	ds_read_b32 v17, v107 offset:832                           // 000000005568: D86C0340 1100006B
	ds_read_b32 v18, v107 offset:896                           // 000000005570: D86C0380 1200006B
	ds_read_b32 v19, v107 offset:960                           // 000000005578: D86C03C0 1300006B
	s_waitcnt lgkmcnt(0)                                       // 000000005580: BF8CC07F
	s_barrier                                                  // 000000005584: BF8A0000
	v_max3_f32 v101, |v4|, |v5|, v101                          // 000000005588: D1D30365 05960B04
	v_max3_f32 v101, |v6|, |v7|, v101                          // 000000005590: D1D30365 05960F06
	v_max3_f32 v101, |v8|, |v9|, v101                          // 000000005598: D1D30365 05961308
	v_max3_f32 v101, |v10|, |v11|, v101                        // 0000000055A0: D1D30365 0596170A
	v_max3_f32 v101, |v12|, |v13|, v101                        // 0000000055A8: D1D30365 05961B0C
	v_max3_f32 v101, |v14|, |v15|, v101                        // 0000000055B0: D1D30365 05961F0E
	v_max3_f32 v101, |v16|, |v17|, v101                        // 0000000055B8: D1D30365 05962310
	v_max3_f32 v101, |v18|, |v19|, v101                        // 0000000055C0: D1D30365 05962712
	v_rcp_f32_e32 v101, v101                                   // 0000000055C8: 7ECA4565
	v_mov_b32_e32 v4, 0x43700000                               // 0000000055CC: 7E0802FF 43700000
	v_mul_f32_e32 v101, v4, v101                               // 0000000055D4: 0ACACB04
	v_mov_b32_e32 v4, v101                                     // 0000000055D8: 7E080365
	v_mov_b32_e32 v5, v4                                       // 0000000055DC: 7E0A0304
	v_pk_mul_f32 v[56:57], v[4:5], v[56:57]                    // 0000000055E0: D3B14038 18027104
	v_pk_mul_f32 v[58:59], v[4:5], v[58:59]                    // 0000000055E8: D3B1403A 18027504
	v_cvt_pk_fp8_f32 v56, v56, v57                             // 0000000055F0: D2A20038 00027338
	v_cvt_pk_fp8_f32 v56, v58, v59 op_sel:[0,0,1]              // 0000000055F8: D2A24038 0002773A
	v_pk_mul_f32 v[68:69], v[4:5], v[68:69]                    // 000000005600: D3B14044 18028904
	v_pk_mul_f32 v[70:71], v[4:5], v[70:71]                    // 000000005608: D3B14046 18028D04
	v_cvt_pk_fp8_f32 v68, v68, v69                             // 000000005610: D2A20044 00028B44
	v_cvt_pk_fp8_f32 v68, v70, v71 op_sel:[0,0,1]              // 000000005618: D2A24044 00028F46
	v_rcp_f32_e32 v101, v101                                   // 000000005620: 7ECA4565
	v_mov_b32_e32 v104, 0x358637bd                             // 000000005624: 7ED002FF 358637BD
	v_max3_f32 v104, |v80|, |v81|, v104                        // 00000000562C: D1D30368 05A2A350
	v_max3_f32 v104, |v82|, |v83|, v104                        // 000000005634: D1D30368 05A2A752
	v_max3_f32 v104, |v92|, |v93|, v104                        // 00000000563C: D1D30368 05A2BB5C
	v_max3_f32 v104, |v94|, |v95|, v104                        // 000000005644: D1D30368 05A2BF5E
	ds_write_b32 v106, v104                                    // 00000000564C: D81A0000 0000686A
	s_waitcnt lgkmcnt(0)                                       // 000000005654: BF8CC07F
	s_barrier                                                  // 000000005658: BF8A0000
	ds_read_b32 v4, v107                                       // 00000000565C: D86C0000 0400006B
	ds_read_b32 v5, v107 offset:64                             // 000000005664: D86C0040 0500006B
	ds_read_b32 v6, v107 offset:128                            // 00000000566C: D86C0080 0600006B
	ds_read_b32 v7, v107 offset:192                            // 000000005674: D86C00C0 0700006B
	ds_read_b32 v8, v107 offset:256                            // 00000000567C: D86C0100 0800006B
	ds_read_b32 v9, v107 offset:320                            // 000000005684: D86C0140 0900006B
	ds_read_b32 v10, v107 offset:384                           // 00000000568C: D86C0180 0A00006B
	ds_read_b32 v11, v107 offset:448                           // 000000005694: D86C01C0 0B00006B
	ds_read_b32 v12, v107 offset:512                           // 00000000569C: D86C0200 0C00006B
	ds_read_b32 v13, v107 offset:576                           // 0000000056A4: D86C0240 0D00006B
	ds_read_b32 v14, v107 offset:640                           // 0000000056AC: D86C0280 0E00006B
	ds_read_b32 v15, v107 offset:704                           // 0000000056B4: D86C02C0 0F00006B
	ds_read_b32 v16, v107 offset:768                           // 0000000056BC: D86C0300 1000006B
	ds_read_b32 v17, v107 offset:832                           // 0000000056C4: D86C0340 1100006B
	ds_read_b32 v18, v107 offset:896                           // 0000000056CC: D86C0380 1200006B
	ds_read_b32 v19, v107 offset:960                           // 0000000056D4: D86C03C0 1300006B
	s_waitcnt lgkmcnt(0)                                       // 0000000056DC: BF8CC07F
	s_barrier                                                  // 0000000056E0: BF8A0000
	v_max3_f32 v104, |v4|, |v5|, v104                          // 0000000056E4: D1D30368 05A20B04
	v_max3_f32 v104, |v6|, |v7|, v104                          // 0000000056EC: D1D30368 05A20F06
	v_max3_f32 v104, |v8|, |v9|, v104                          // 0000000056F4: D1D30368 05A21308
	v_max3_f32 v104, |v10|, |v11|, v104                        // 0000000056FC: D1D30368 05A2170A
	v_max3_f32 v104, |v12|, |v13|, v104                        // 000000005704: D1D30368 05A21B0C
	v_max3_f32 v104, |v14|, |v15|, v104                        // 00000000570C: D1D30368 05A21F0E
	v_max3_f32 v104, |v16|, |v17|, v104                        // 000000005714: D1D30368 05A22310
	v_max3_f32 v104, |v18|, |v19|, v104                        // 00000000571C: D1D30368 05A22712
	v_rcp_f32_e32 v104, v104                                   // 000000005724: 7ED04568
	v_mov_b32_e32 v4, 0x43700000                               // 000000005728: 7E0802FF 43700000
	v_mul_f32_e32 v104, v4, v104                               // 000000005730: 0AD0D104
	v_mov_b32_e32 v4, v104                                     // 000000005734: 7E080368
	v_mov_b32_e32 v5, v4                                       // 000000005738: 7E0A0304
	v_pk_mul_f32 v[80:81], v[4:5], v[80:81]                    // 00000000573C: D3B14050 1802A104
	v_pk_mul_f32 v[82:83], v[4:5], v[82:83]                    // 000000005744: D3B14052 1802A504
	v_cvt_pk_fp8_f32 v80, v80, v81                             // 00000000574C: D2A20050 0002A350
	v_cvt_pk_fp8_f32 v80, v82, v83 op_sel:[0,0,1]              // 000000005754: D2A24050 0002A752
	v_pk_mul_f32 v[92:93], v[4:5], v[92:93]                    // 00000000575C: D3B1405C 1802B904
	v_pk_mul_f32 v[94:95], v[4:5], v[94:95]                    // 000000005764: D3B1405E 1802BD04
	v_cvt_pk_fp8_f32 v92, v92, v93                             // 00000000576C: D2A2005C 0002BB5C
	v_cvt_pk_fp8_f32 v92, v94, v95 op_sel:[0,0,1]              // 000000005774: D2A2405C 0002BF5E
	v_rcp_f32_e32 v104, v104                                   // 00000000577C: 7ED04568
	v_mov_b32_e32 v102, 0x358637bd                             // 000000005780: 7ECC02FF 358637BD
	v_max3_f32 v102, |v60|, |v61|, v102                        // 000000005788: D1D30366 059A7B3C
	v_max3_f32 v102, |v62|, |v63|, v102                        // 000000005790: D1D30366 059A7F3E
	v_max3_f32 v102, |v72|, |v73|, v102                        // 000000005798: D1D30366 059A9348
	v_max3_f32 v102, |v74|, |v75|, v102                        // 0000000057A0: D1D30366 059A974A
	ds_write_b32 v106, v102                                    // 0000000057A8: D81A0000 0000666A
	s_waitcnt lgkmcnt(0)                                       // 0000000057B0: BF8CC07F
	s_barrier                                                  // 0000000057B4: BF8A0000
	ds_read_b32 v4, v107                                       // 0000000057B8: D86C0000 0400006B
	ds_read_b32 v5, v107 offset:64                             // 0000000057C0: D86C0040 0500006B
	ds_read_b32 v6, v107 offset:128                            // 0000000057C8: D86C0080 0600006B
	ds_read_b32 v7, v107 offset:192                            // 0000000057D0: D86C00C0 0700006B
	ds_read_b32 v8, v107 offset:256                            // 0000000057D8: D86C0100 0800006B
	ds_read_b32 v9, v107 offset:320                            // 0000000057E0: D86C0140 0900006B
	ds_read_b32 v10, v107 offset:384                           // 0000000057E8: D86C0180 0A00006B
	ds_read_b32 v11, v107 offset:448                           // 0000000057F0: D86C01C0 0B00006B
	ds_read_b32 v12, v107 offset:512                           // 0000000057F8: D86C0200 0C00006B
	ds_read_b32 v13, v107 offset:576                           // 000000005800: D86C0240 0D00006B
	ds_read_b32 v14, v107 offset:640                           // 000000005808: D86C0280 0E00006B
	ds_read_b32 v15, v107 offset:704                           // 000000005810: D86C02C0 0F00006B
	ds_read_b32 v16, v107 offset:768                           // 000000005818: D86C0300 1000006B
	ds_read_b32 v17, v107 offset:832                           // 000000005820: D86C0340 1100006B
	ds_read_b32 v18, v107 offset:896                           // 000000005828: D86C0380 1200006B
	ds_read_b32 v19, v107 offset:960                           // 000000005830: D86C03C0 1300006B
	s_waitcnt lgkmcnt(0)                                       // 000000005838: BF8CC07F
	s_barrier                                                  // 00000000583C: BF8A0000
	v_max3_f32 v102, |v4|, |v5|, v102                          // 000000005840: D1D30366 059A0B04
	v_max3_f32 v102, |v6|, |v7|, v102                          // 000000005848: D1D30366 059A0F06
	v_max3_f32 v102, |v8|, |v9|, v102                          // 000000005850: D1D30366 059A1308
	v_max3_f32 v102, |v10|, |v11|, v102                        // 000000005858: D1D30366 059A170A
	v_max3_f32 v102, |v12|, |v13|, v102                        // 000000005860: D1D30366 059A1B0C
	v_max3_f32 v102, |v14|, |v15|, v102                        // 000000005868: D1D30366 059A1F0E
	v_max3_f32 v102, |v16|, |v17|, v102                        // 000000005870: D1D30366 059A2310
	v_max3_f32 v102, |v18|, |v19|, v102                        // 000000005878: D1D30366 059A2712
	v_rcp_f32_e32 v102, v102                                   // 000000005880: 7ECC4566
	v_mov_b32_e32 v4, 0x43700000                               // 000000005884: 7E0802FF 43700000
	v_mul_f32_e32 v102, v4, v102                               // 00000000588C: 0ACCCD04
	v_mov_b32_e32 v4, v102                                     // 000000005890: 7E080366
	v_mov_b32_e32 v5, v4                                       // 000000005894: 7E0A0304
	v_pk_mul_f32 v[60:61], v[4:5], v[60:61]                    // 000000005898: D3B1403C 18027904
	v_pk_mul_f32 v[62:63], v[4:5], v[62:63]                    // 0000000058A0: D3B1403E 18027D04
	v_cvt_pk_fp8_f32 v60, v60, v61                             // 0000000058A8: D2A2003C 00027B3C
	v_cvt_pk_fp8_f32 v60, v62, v63 op_sel:[0,0,1]              // 0000000058B0: D2A2403C 00027F3E
	v_pk_mul_f32 v[72:73], v[4:5], v[72:73]                    // 0000000058B8: D3B14048 18029104
	v_pk_mul_f32 v[74:75], v[4:5], v[74:75]                    // 0000000058C0: D3B1404A 18029504
	v_cvt_pk_fp8_f32 v72, v72, v73                             // 0000000058C8: D2A20048 00029348
	v_cvt_pk_fp8_f32 v72, v74, v75 op_sel:[0,0,1]              // 0000000058D0: D2A24048 0002974A
	v_rcp_f32_e32 v102, v102                                   // 0000000058D8: 7ECC4566
	v_mov_b32_e32 v105, 0x358637bd                             // 0000000058DC: 7ED202FF 358637BD
	v_max3_f32 v105, |v84|, |v85|, v105                        // 0000000058E4: D1D30369 05A6AB54
	v_max3_f32 v105, |v86|, |v87|, v105                        // 0000000058EC: D1D30369 05A6AF56
	v_max3_f32 v105, |v96|, |v97|, v105                        // 0000000058F4: D1D30369 05A6C360
	v_max3_f32 v105, |v98|, |v99|, v105                        // 0000000058FC: D1D30369 05A6C762
	ds_write_b32 v106, v105                                    // 000000005904: D81A0000 0000696A
	s_waitcnt lgkmcnt(0)                                       // 00000000590C: BF8CC07F
	s_barrier                                                  // 000000005910: BF8A0000
	ds_read_b32 v4, v107                                       // 000000005914: D86C0000 0400006B
	ds_read_b32 v5, v107 offset:64                             // 00000000591C: D86C0040 0500006B
	ds_read_b32 v6, v107 offset:128                            // 000000005924: D86C0080 0600006B
	ds_read_b32 v7, v107 offset:192                            // 00000000592C: D86C00C0 0700006B
	ds_read_b32 v8, v107 offset:256                            // 000000005934: D86C0100 0800006B
	ds_read_b32 v9, v107 offset:320                            // 00000000593C: D86C0140 0900006B
	ds_read_b32 v10, v107 offset:384                           // 000000005944: D86C0180 0A00006B
	ds_read_b32 v11, v107 offset:448                           // 00000000594C: D86C01C0 0B00006B
	ds_read_b32 v12, v107 offset:512                           // 000000005954: D86C0200 0C00006B
	ds_read_b32 v13, v107 offset:576                           // 00000000595C: D86C0240 0D00006B
	ds_read_b32 v14, v107 offset:640                           // 000000005964: D86C0280 0E00006B
	ds_read_b32 v15, v107 offset:704                           // 00000000596C: D86C02C0 0F00006B
	ds_read_b32 v16, v107 offset:768                           // 000000005974: D86C0300 1000006B
	ds_read_b32 v17, v107 offset:832                           // 00000000597C: D86C0340 1100006B
	ds_read_b32 v18, v107 offset:896                           // 000000005984: D86C0380 1200006B
	ds_read_b32 v19, v107 offset:960                           // 00000000598C: D86C03C0 1300006B
	s_waitcnt lgkmcnt(0)                                       // 000000005994: BF8CC07F
	s_barrier                                                  // 000000005998: BF8A0000
	v_max3_f32 v105, |v4|, |v5|, v105                          // 00000000599C: D1D30369 05A60B04
	v_max3_f32 v105, |v6|, |v7|, v105                          // 0000000059A4: D1D30369 05A60F06
	v_max3_f32 v105, |v8|, |v9|, v105                          // 0000000059AC: D1D30369 05A61308
	v_max3_f32 v105, |v10|, |v11|, v105                        // 0000000059B4: D1D30369 05A6170A
	v_max3_f32 v105, |v12|, |v13|, v105                        // 0000000059BC: D1D30369 05A61B0C
	v_max3_f32 v105, |v14|, |v15|, v105                        // 0000000059C4: D1D30369 05A61F0E
	v_max3_f32 v105, |v16|, |v17|, v105                        // 0000000059CC: D1D30369 05A62310
	v_max3_f32 v105, |v18|, |v19|, v105                        // 0000000059D4: D1D30369 05A62712
	v_rcp_f32_e32 v105, v105                                   // 0000000059DC: 7ED24569
	v_mov_b32_e32 v4, 0x43700000                               // 0000000059E0: 7E0802FF 43700000
	v_mul_f32_e32 v105, v4, v105                               // 0000000059E8: 0AD2D304
	v_mov_b32_e32 v4, v105                                     // 0000000059EC: 7E080369
	v_mov_b32_e32 v5, v4                                       // 0000000059F0: 7E0A0304
	v_pk_mul_f32 v[84:85], v[4:5], v[84:85]                    // 0000000059F4: D3B14054 1802A904
	v_pk_mul_f32 v[86:87], v[4:5], v[86:87]                    // 0000000059FC: D3B14056 1802AD04
	v_cvt_pk_fp8_f32 v84, v84, v85                             // 000000005A04: D2A20054 0002AB54
	v_cvt_pk_fp8_f32 v84, v86, v87 op_sel:[0,0,1]              // 000000005A0C: D2A24054 0002AF56
	v_pk_mul_f32 v[96:97], v[4:5], v[96:97]                    // 000000005A14: D3B14060 1802C104
	v_pk_mul_f32 v[98:99], v[4:5], v[98:99]                    // 000000005A1C: D3B14062 1802C504
	v_cvt_pk_fp8_f32 v96, v96, v97                             // 000000005A24: D2A20060 0002C360
	v_cvt_pk_fp8_f32 v96, v98, v99 op_sel:[0,0,1]              // 000000005A2C: D2A24060 0002C762
	v_rcp_f32_e32 v105, v105                                   // 000000005A34: 7ED24569
	v_lshrrev_b32_e32 v4, 5, v0                                // 000000005A38: 20080085
	v_mul_lo_u32 v20, 34, v4                                   // 000000005A3C: D2850014 000208A2
	v_and_b32_e32 v4, 31, v0                                   // 000000005A44: 2608009F
	v_lshrrev_b32_e32 v5, 4, v4                                // 000000005A48: 200A0884
	v_add_u32_e32 v20, v5, v20                                 // 000000005A4C: 68282905
	v_and_b32_e32 v4, 15, v0                                   // 000000005A50: 2608008F
	v_mul_lo_u32 v5, 2, v4                                     // 000000005A54: D2850005 00020882
	v_add_u32_e32 v20, v5, v20                                 // 000000005A5C: 68282905
	s_mul_i32 s60, s7, 0x44                                    // 000000005A60: 923CFF07 00000044
	v_add_u32_e32 v20, s60, v20                                // 000000005A68: 6828283C
	v_lshlrev_b32_e32 v20, 2, v20                              // 000000005A6C: 24282882
	ds_write_b32 v20, v52                                      // 000000005A70: D81A0000 00003414
	ds_write_b32 v20, v56 offset:4352                          // 000000005A78: D81A1100 00003814
	ds_write_b32 v20, v60 offset:8704                          // 000000005A80: D81A2200 00003C14
	ds_write_b32 v20, v64 offset:1088                          // 000000005A88: D81A0440 00004014
	ds_write_b32 v20, v68 offset:5440                          // 000000005A90: D81A1540 00004414
	ds_write_b32 v20, v72 offset:9792                          // 000000005A98: D81A2640 00004814
	ds_write_b32 v20, v76 offset:2176                          // 000000005AA0: D81A0880 00004C14
	ds_write_b32 v20, v80 offset:6528                          // 000000005AA8: D81A1980 00005014
	ds_write_b32 v20, v84 offset:10880                         // 000000005AB0: D81A2A80 00005414
	ds_write_b32 v20, v88 offset:3264                          // 000000005AB8: D81A0CC0 00005814
	ds_write_b32 v20, v92 offset:7616                          // 000000005AC0: D81A1DC0 00005C14
	ds_write_b32 v20, v96 offset:11968                         // 000000005AC8: D81A2EC0 00006014
	v_lshrrev_b32_e32 v4, 5, v0                                // 000000005AD0: 20080085
	v_xor_b32_e32 v5, 1, v4                                    // 000000005AD4: 2A0A0881
	s_mul_i32 s60, s65, 1                                      // 000000005AD8: 923C8141
	s_cmp_eq_u32 s88, 0                                        // 000000005ADC: BF068058
	s_cselect_b32 s61, 1, 8                                    // 000000005AE0: 853D8881
	s_mul_i32 s60, s61, s60                                    // 000000005AE4: 923C3C3D
	v_readlane_b32 s82, v3, 0                                  // 000000005AE8: D2890052 00010103
	s_lshr_b32 s61, s82, 24                                    // 000000005AF0: 8F3D9852
	s_and_b32 s82, s82, 0xffffff                               // 000000005AF4: 8652FF52 00FFFFFF
	s_mul_i32 s82, s82, s71                                    // 000000005AFC: 92524752
	s_mul_i32 s61, s60, s61                                    // 000000005B00: 923D3D3C
	s_add_u32 s82, s82, s61                                    // 000000005B04: 80523D52
	v_mul_lo_u32 v6, v5, s82                                   // 000000005B08: D2850006 0000A505
	v_readlane_b32 s82, v3, 1                                  // 000000005B10: D2890052 00010303
	s_lshr_b32 s61, s82, 24                                    // 000000005B18: 8F3D9852
	s_and_b32 s82, s82, 0xffffff                               // 000000005B1C: 8652FF52 00FFFFFF
	s_mul_i32 s82, s82, s71                                    // 000000005B24: 92524752
	s_mul_i32 s61, s60, s61                                    // 000000005B28: 923D3D3C
	s_add_u32 s82, s82, s61                                    // 000000005B2C: 80523D52
	v_mul_lo_u32 v7, v4, s82                                   // 000000005B30: D2850007 0000A504
	v_add_u32_e32 v40, v6, v7                                  // 000000005B38: 68500F06
	v_readlane_b32 s82, v3, 2                                  // 000000005B3C: D2890052 00010503
	s_lshr_b32 s61, s82, 24                                    // 000000005B44: 8F3D9852
	s_and_b32 s82, s82, 0xffffff                               // 000000005B48: 8652FF52 00FFFFFF
	s_mul_i32 s82, s82, s71                                    // 000000005B50: 92524752
	s_mul_i32 s61, s60, s61                                    // 000000005B54: 923D3D3C
	s_add_u32 s82, s82, s61                                    // 000000005B58: 80523D52
	v_mul_lo_u32 v6, v5, s82                                   // 000000005B5C: D2850006 0000A505
	v_readlane_b32 s82, v3, 3                                  // 000000005B64: D2890052 00010703
	s_lshr_b32 s61, s82, 24                                    // 000000005B6C: 8F3D9852
	s_and_b32 s82, s82, 0xffffff                               // 000000005B70: 8652FF52 00FFFFFF
	s_mul_i32 s82, s82, s71                                    // 000000005B78: 92524752
	s_mul_i32 s61, s60, s61                                    // 000000005B7C: 923D3D3C
	s_add_u32 s82, s82, s61                                    // 000000005B80: 80523D52
	v_mul_lo_u32 v7, v4, s82                                   // 000000005B84: D2850007 0000A504
	v_add_u32_e32 v41, v6, v7                                  // 000000005B8C: 68520F06
	v_readlane_b32 s82, v3, 4                                  // 000000005B90: D2890052 00010903
	s_lshr_b32 s61, s82, 24                                    // 000000005B98: 8F3D9852
	s_and_b32 s82, s82, 0xffffff                               // 000000005B9C: 8652FF52 00FFFFFF
	s_mul_i32 s82, s82, s71                                    // 000000005BA4: 92524752
	s_mul_i32 s61, s60, s61                                    // 000000005BA8: 923D3D3C
	s_add_u32 s82, s82, s61                                    // 000000005BAC: 80523D52
	v_mul_lo_u32 v6, v5, s82                                   // 000000005BB0: D2850006 0000A505
	v_readlane_b32 s82, v3, 5                                  // 000000005BB8: D2890052 00010B03
	s_lshr_b32 s61, s82, 24                                    // 000000005BC0: 8F3D9852
	s_and_b32 s82, s82, 0xffffff                               // 000000005BC4: 8652FF52 00FFFFFF
	s_mul_i32 s82, s82, s71                                    // 000000005BCC: 92524752
	s_mul_i32 s61, s60, s61                                    // 000000005BD0: 923D3D3C
	s_add_u32 s82, s82, s61                                    // 000000005BD4: 80523D52
	v_mul_lo_u32 v7, v4, s82                                   // 000000005BD8: D2850007 0000A504
	v_add_u32_e32 v42, v6, v7                                  // 000000005BE0: 68540F06
	v_readlane_b32 s82, v3, 6                                  // 000000005BE4: D2890052 00010D03
	s_lshr_b32 s61, s82, 24                                    // 000000005BEC: 8F3D9852
	s_and_b32 s82, s82, 0xffffff                               // 000000005BF0: 8652FF52 00FFFFFF
	s_mul_i32 s82, s82, s71                                    // 000000005BF8: 92524752
	s_mul_i32 s61, s60, s61                                    // 000000005BFC: 923D3D3C
	s_add_u32 s82, s82, s61                                    // 000000005C00: 80523D52
	v_mul_lo_u32 v6, v5, s82                                   // 000000005C04: D2850006 0000A505
	v_readlane_b32 s82, v3, 7                                  // 000000005C0C: D2890052 00010F03
	s_lshr_b32 s61, s82, 24                                    // 000000005C14: 8F3D9852
	s_and_b32 s82, s82, 0xffffff                               // 000000005C18: 8652FF52 00FFFFFF
	s_mul_i32 s82, s82, s71                                    // 000000005C20: 92524752
	s_mul_i32 s61, s60, s61                                    // 000000005C24: 923D3D3C
	s_add_u32 s82, s82, s61                                    // 000000005C28: 80523D52
	v_mul_lo_u32 v7, v4, s82                                   // 000000005C2C: D2850007 0000A504
	v_add_u32_e32 v43, v6, v7                                  // 000000005C34: 68560F06
	v_readlane_b32 s82, v3, 8                                  // 000000005C38: D2890052 00011103
	s_lshr_b32 s61, s82, 24                                    // 000000005C40: 8F3D9852
	s_and_b32 s82, s82, 0xffffff                               // 000000005C44: 8652FF52 00FFFFFF
	s_mul_i32 s82, s82, s71                                    // 000000005C4C: 92524752
	s_mul_i32 s61, s60, s61                                    // 000000005C50: 923D3D3C
	s_add_u32 s82, s82, s61                                    // 000000005C54: 80523D52
	v_mul_lo_u32 v6, v5, s82                                   // 000000005C58: D2850006 0000A505
	v_readlane_b32 s82, v3, 9                                  // 000000005C60: D2890052 00011303
	s_lshr_b32 s61, s82, 24                                    // 000000005C68: 8F3D9852
	s_and_b32 s82, s82, 0xffffff                               // 000000005C6C: 8652FF52 00FFFFFF
	s_mul_i32 s82, s82, s71                                    // 000000005C74: 92524752
	s_mul_i32 s61, s60, s61                                    // 000000005C78: 923D3D3C
	s_add_u32 s82, s82, s61                                    // 000000005C7C: 80523D52
	v_mul_lo_u32 v7, v4, s82                                   // 000000005C80: D2850007 0000A504
	v_add_u32_e32 v44, v6, v7                                  // 000000005C88: 68580F06
	v_readlane_b32 s82, v3, 10                                 // 000000005C8C: D2890052 00011503
	s_lshr_b32 s61, s82, 24                                    // 000000005C94: 8F3D9852
	s_and_b32 s82, s82, 0xffffff                               // 000000005C98: 8652FF52 00FFFFFF
	s_mul_i32 s82, s82, s71                                    // 000000005CA0: 92524752
	s_mul_i32 s61, s60, s61                                    // 000000005CA4: 923D3D3C
	s_add_u32 s82, s82, s61                                    // 000000005CA8: 80523D52
	v_mul_lo_u32 v6, v5, s82                                   // 000000005CAC: D2850006 0000A505
	v_readlane_b32 s82, v3, 11                                 // 000000005CB4: D2890052 00011703
	s_lshr_b32 s61, s82, 24                                    // 000000005CBC: 8F3D9852
	s_and_b32 s82, s82, 0xffffff                               // 000000005CC0: 8652FF52 00FFFFFF
	s_mul_i32 s82, s82, s71                                    // 000000005CC8: 92524752
	s_mul_i32 s61, s60, s61                                    // 000000005CCC: 923D3D3C
	s_add_u32 s82, s82, s61                                    // 000000005CD0: 80523D52
	v_mul_lo_u32 v7, v4, s82                                   // 000000005CD4: D2850007 0000A504
	v_add_u32_e32 v45, v6, v7                                  // 000000005CDC: 685A0F06
	v_and_b32_e32 v4, 31, v0                                   // 000000005CE0: 2608009F
	v_lshrrev_b32_e32 v4, 1, v4                                // 000000005CE4: 20080881
	s_cmp_eq_u32 s88, 0                                        // 000000005CE8: BF068058
	s_cselect_b32 s61, 2, 4                                    // 000000005CEC: 853D8482
	v_mul_lo_u32 v4, v4, s61                                   // 000000005CF0: D2850004 00007B04
	v_and_b32_e64 v5, v0, 1                                    // 000000005CF8: D1130005 00010300
	v_add_u32_e32 v4, v4, v5                                   // 000000005D00: 68080B04
	v_lshlrev_b32_e32 v4, 2, v4                                // 000000005D04: 24080882
	v_add_u32_e32 v40, v40, v4                                 // 000000005D08: 68500928
	v_add_u32_e32 v41, v41, v4                                 // 000000005D0C: 68520929
	v_add_u32_e32 v42, v42, v4                                 // 000000005D10: 6854092A
	v_add_u32_e32 v43, v43, v4                                 // 000000005D14: 6856092B
	v_add_u32_e32 v44, v44, v4                                 // 000000005D18: 6858092C
	v_add_u32_e32 v45, v45, v4                                 // 000000005D1C: 685A092D
	s_waitcnt lgkmcnt(0)                                       // 000000005D20: BF8CC07F
	s_barrier                                                  // 000000005D24: BF8A0000
	ds_read_b32 v52, v21                                       // 000000005D28: D86C0000 34000015
	ds_read_b32 v53, v21 offset:64                             // 000000005D30: D86C0040 35000015
	ds_read_b32 v54, v21 offset:2176                           // 000000005D38: D86C0880 36000015
	ds_read_b32 v55, v21 offset:2240                           // 000000005D40: D86C08C0 37000015
	ds_read_b32 v56, v21 offset:4352                           // 000000005D48: D86C1100 38000015
	ds_read_b32 v57, v21 offset:4416                           // 000000005D50: D86C1140 39000015
	ds_read_b32 v58, v21 offset:6528                           // 000000005D58: D86C1980 3A000015
	ds_read_b32 v59, v21 offset:6592                           // 000000005D60: D86C19C0 3B000015
	ds_read_b32 v60, v21 offset:8704                           // 000000005D68: D86C2200 3C000015
	ds_read_b32 v61, v21 offset:8768                           // 000000005D70: D86C2240 3D000015
	ds_read_b32 v62, v21 offset:10880                          // 000000005D78: D86C2A80 3E000015
	ds_read_b32 v63, v21 offset:10944                          // 000000005D80: D86C2AC0 3F000015
	s_waitcnt lgkmcnt(0)                                       // 000000005D88: BF8CC07F
	s_mov_b32 s36, -1                                          // 000000005D8C: BEA400C1
	s_mov_b32 s37, -1                                          // 000000005D90: BEA500C1
	v_mov_b32_e32 v7, 0                                        // 000000005D94: 7E0E0280
	s_or_b32 s9, s9, 0x40000                                   // 000000005D98: 8709FF09 00040000
	s_mov_b64 exec, s[36:37]                                   // 000000005DA0: BEFE0124
	v_mov_b32_e32 v6, v40                                      // 000000005DA4: 7E0C0328
	s_mov_b64 s[60:61], 0                                      // 000000005DA8: BEBC0180
	v_readlane_b32 s82, v3, 0                                  // 000000005DAC: D2890052 00010103
	s_and_b32 s82, s82, 0xffffff                               // 000000005DB4: 8652FF52 00FFFFFF
	s_cmp_lt_u32 s82, s66                                      // 000000005DBC: BF0A4252
	s_cselect_b32 s20, s36, s60                                // 000000005DC0: 85143C24
	v_readlane_b32 s82, v3, 1                                  // 000000005DC4: D2890052 00010303
	s_and_b32 s82, s82, 0xffffff                               // 000000005DCC: 8652FF52 00FFFFFF
	s_cmp_lt_u32 s82, s66                                      // 000000005DD4: BF0A4252
	s_cselect_b32 s21, s36, s60                                // 000000005DD8: 85153C24
	s_mov_b64 exec, s[20:21]                                   // 000000005DDC: BEFE0114
	buffer_store_dword v52, v6, s[8:11], 0 offen               // 000000005DE0: E0701000 80023406
	buffer_store_dword v54, v6, s[8:11], 0 offen offset:128    // 000000005DE8: E0701080 80023606
	s_mov_b64 exec, s[36:37]                                   // 000000005DF0: BEFE0124
	v_mov_b32_e32 v6, v41                                      // 000000005DF4: 7E0C0329
	s_mov_b64 s[60:61], 0                                      // 000000005DF8: BEBC0180
	v_readlane_b32 s82, v3, 2                                  // 000000005DFC: D2890052 00010503
	s_and_b32 s82, s82, 0xffffff                               // 000000005E04: 8652FF52 00FFFFFF
	s_cmp_lt_u32 s82, s66                                      // 000000005E0C: BF0A4252
	s_cselect_b32 s20, s36, s60                                // 000000005E10: 85143C24
	v_readlane_b32 s82, v3, 3                                  // 000000005E14: D2890052 00010703
	s_and_b32 s82, s82, 0xffffff                               // 000000005E1C: 8652FF52 00FFFFFF
	s_cmp_lt_u32 s82, s66                                      // 000000005E24: BF0A4252
	s_cselect_b32 s21, s36, s60                                // 000000005E28: 85153C24
	s_mov_b64 exec, s[20:21]                                   // 000000005E2C: BEFE0114
	buffer_store_dword v53, v6, s[8:11], 0 offen               // 000000005E30: E0701000 80023506
	buffer_store_dword v55, v6, s[8:11], 0 offen offset:128    // 000000005E38: E0701080 80023706
	s_mov_b64 exec, s[36:37]                                   // 000000005E40: BEFE0124
	v_mov_b32_e32 v6, v42                                      // 000000005E44: 7E0C032A
	s_mov_b64 s[60:61], 0                                      // 000000005E48: BEBC0180
	v_readlane_b32 s82, v3, 4                                  // 000000005E4C: D2890052 00010903
	s_and_b32 s82, s82, 0xffffff                               // 000000005E54: 8652FF52 00FFFFFF
	s_cmp_lt_u32 s82, s66                                      // 000000005E5C: BF0A4252
	s_cselect_b32 s20, s36, s60                                // 000000005E60: 85143C24
	v_readlane_b32 s82, v3, 5                                  // 000000005E64: D2890052 00010B03
	s_and_b32 s82, s82, 0xffffff                               // 000000005E6C: 8652FF52 00FFFFFF
	s_cmp_lt_u32 s82, s66                                      // 000000005E74: BF0A4252
	s_cselect_b32 s21, s36, s60                                // 000000005E78: 85153C24
	s_mov_b64 exec, s[20:21]                                   // 000000005E7C: BEFE0114
	buffer_store_dword v56, v6, s[8:11], 0 offen               // 000000005E80: E0701000 80023806
	buffer_store_dword v58, v6, s[8:11], 0 offen offset:128    // 000000005E88: E0701080 80023A06
	s_mov_b64 exec, s[36:37]                                   // 000000005E90: BEFE0124
	v_mov_b32_e32 v6, v43                                      // 000000005E94: 7E0C032B
	s_mov_b64 s[60:61], 0                                      // 000000005E98: BEBC0180
	v_readlane_b32 s82, v3, 6                                  // 000000005E9C: D2890052 00010D03
	s_and_b32 s82, s82, 0xffffff                               // 000000005EA4: 8652FF52 00FFFFFF
	s_cmp_lt_u32 s82, s66                                      // 000000005EAC: BF0A4252
	s_cselect_b32 s20, s36, s60                                // 000000005EB0: 85143C24
	v_readlane_b32 s82, v3, 7                                  // 000000005EB4: D2890052 00010F03
	s_and_b32 s82, s82, 0xffffff                               // 000000005EBC: 8652FF52 00FFFFFF
	s_cmp_lt_u32 s82, s66                                      // 000000005EC4: BF0A4252
	s_cselect_b32 s21, s36, s60                                // 000000005EC8: 85153C24
	s_mov_b64 exec, s[20:21]                                   // 000000005ECC: BEFE0114
	buffer_store_dword v57, v6, s[8:11], 0 offen               // 000000005ED0: E0701000 80023906
	buffer_store_dword v59, v6, s[8:11], 0 offen offset:128    // 000000005ED8: E0701080 80023B06
	s_mov_b64 exec, s[36:37]                                   // 000000005EE0: BEFE0124
	v_mov_b32_e32 v6, v44                                      // 000000005EE4: 7E0C032C
	s_mov_b64 s[60:61], 0                                      // 000000005EE8: BEBC0180
	v_readlane_b32 s82, v3, 8                                  // 000000005EEC: D2890052 00011103
	s_and_b32 s82, s82, 0xffffff                               // 000000005EF4: 8652FF52 00FFFFFF
	s_cmp_lt_u32 s82, s66                                      // 000000005EFC: BF0A4252
	s_cselect_b32 s20, s36, s60                                // 000000005F00: 85143C24
	v_readlane_b32 s82, v3, 9                                  // 000000005F04: D2890052 00011303
	s_and_b32 s82, s82, 0xffffff                               // 000000005F0C: 8652FF52 00FFFFFF
	s_cmp_lt_u32 s82, s66                                      // 000000005F14: BF0A4252
	s_cselect_b32 s21, s36, s60                                // 000000005F18: 85153C24
	s_mov_b64 exec, s[20:21]                                   // 000000005F1C: BEFE0114
	buffer_store_dword v60, v6, s[8:11], 0 offen               // 000000005F20: E0701000 80023C06
	buffer_store_dword v62, v6, s[8:11], 0 offen offset:128    // 000000005F28: E0701080 80023E06
	s_mov_b64 exec, s[36:37]                                   // 000000005F30: BEFE0124
	v_mov_b32_e32 v6, v45                                      // 000000005F34: 7E0C032D
	s_mov_b64 s[60:61], 0                                      // 000000005F38: BEBC0180
	v_readlane_b32 s82, v3, 10                                 // 000000005F3C: D2890052 00011503
	s_and_b32 s82, s82, 0xffffff                               // 000000005F44: 8652FF52 00FFFFFF
	s_cmp_lt_u32 s82, s66                                      // 000000005F4C: BF0A4252
	s_cselect_b32 s20, s36, s60                                // 000000005F50: 85143C24
	v_readlane_b32 s82, v3, 11                                 // 000000005F54: D2890052 00011703
	s_and_b32 s82, s82, 0xffffff                               // 000000005F5C: 8652FF52 00FFFFFF
	s_cmp_lt_u32 s82, s66                                      // 000000005F64: BF0A4252
	s_cselect_b32 s21, s36, s60                                // 000000005F68: 85153C24
	s_mov_b64 exec, s[20:21]                                   // 000000005F6C: BEFE0114
	buffer_store_dword v61, v6, s[8:11], 0 offen               // 000000005F70: E0701000 80023D06
	buffer_store_dword v63, v6, s[8:11], 0 offen offset:128    // 000000005F78: E0701080 80023F06
	s_mov_b64 exec, s[36:37]                                   // 000000005F80: BEFE0124
	s_cmp_eq_u32 s7, 0                                         // 000000005F84: BF068007
	s_cbranch_scc0 label_20F6                                  // 000000005F88: BF841390
	s_waitcnt vmcnt(12)                                        // 000000005F8C: BF8C0F7C
	s_mov_b32 s8, s90                                          // 000000005F90: BE88005A
	s_mov_b32 s9, s91                                          // 000000005F94: BE89005B
	s_mul_i32 s60, s66, s71                                    // 000000005F98: 923C4742
	s_add_u32 s8, s60, s8                                      // 000000005F9C: 8008083C
	s_addc_u32 s9, 0, s9                                       // 000000005FA0: 82090980
	s_lshr_b32 s71, s71, 5                                     // 000000005FA4: 8F478547
	s_mul_i32 s60, s66, s71                                    // 000000005FA8: 923C4742
	s_mov_b32 s10, s60                                         // 000000005FAC: BE8A003C
	s_lshr_b32 s61, s65, 5                                     // 000000005FB0: 8F3D8541
	s_mul_i32 s60, s2, 8                                       // 000000005FB4: 923C8802
	v_lshrrev_b32_e32 v4, 24, v28                              // 000000005FB8: 20083898
	v_mul_lo_u32 v4, s61, v4                                   // 000000005FBC: D2850004 0002083D
	v_and_b32_e32 v28, 0xffffff, v28                           // 000000005FC4: 263838FF 00FFFFFF
	v_mul_lo_u32 v28, s71, v28                                 // 000000005FCC: D285001C 00023847
	v_add_u32_e32 v28, v4, v28                                 // 000000005FD4: 68383904
	v_add_u32_e32 v28, s60, v28                                // 000000005FD8: 6838383C
	v_lshrrev_b32_e32 v4, 24, v29                              // 000000005FDC: 20083A98
	v_mul_lo_u32 v4, s61, v4                                   // 000000005FE0: D2850004 0002083D
	v_and_b32_e32 v29, 0xffffff, v29                           // 000000005FE8: 263A3AFF 00FFFFFF
	v_mul_lo_u32 v29, s71, v29                                 // 000000005FF0: D285001D 00023A47
	v_add_u32_e32 v29, v4, v29                                 // 000000005FF8: 683A3B04
	v_add_u32_e32 v29, s60, v29                                // 000000005FFC: 683A3A3C
	v_lshrrev_b32_e32 v4, 24, v30                              // 000000006000: 20083C98
	v_mul_lo_u32 v4, s61, v4                                   // 000000006004: D2850004 0002083D
	v_and_b32_e32 v30, 0xffffff, v30                           // 00000000600C: 263C3CFF 00FFFFFF
	v_mul_lo_u32 v30, s71, v30                                 // 000000006014: D285001E 00023C47
	v_add_u32_e32 v30, v4, v30                                 // 00000000601C: 683C3D04
	v_add_u32_e32 v30, s60, v30                                // 000000006020: 683C3C3C
	s_mov_b64 exec, 0xffff                                     // 000000006024: BEFE01FF 0000FFFF
	buffer_store_dword v100, v28, s[8:11], 0 offen             // 00000000602C: E0701000 8002641C
	buffer_store_dword v103, v28, s[8:11], 0 offen offset:4    // 000000006034: E0701004 8002671C
	buffer_store_dword v101, v29, s[8:11], 0 offen             // 00000000603C: E0701000 8002651D
	buffer_store_dword v104, v29, s[8:11], 0 offen offset:4    // 000000006044: E0701004 8002681D
	buffer_store_dword v102, v30, s[8:11], 0 offen             // 00000000604C: E0701000 8002661E
	buffer_store_dword v105, v30, s[8:11], 0 offen offset:4    // 000000006054: E0701004 8002691E
	s_mov_b64 exec, s[36:37]                                   // 00000000605C: BEFE0124
	s_branch label_20F6                                        // 000000006060: BF82135A

0000000000006064 <label_0D99>:
	ds_write_b64 v20, v[52:53]                                 // 000000006064: D89A0000 00003414
	ds_write_b64 v20, v[56:57] offset:8704                     // 00000000606C: D89A2200 00003814
	ds_write_b64 v20, v[60:61] offset:17408                    // 000000006074: D89A4400 00003C14
	ds_write_b64 v20, v[64:65] offset:2176                     // 00000000607C: D89A0880 00004014
	ds_write_b64 v20, v[68:69] offset:10880                    // 000000006084: D89A2A80 00004414
	ds_write_b64 v20, v[72:73] offset:19584                    // 00000000608C: D89A4C80 00004814
	ds_write_b64 v20, v[76:77] offset:4352                     // 000000006094: D89A1100 00004C14
	ds_write_b64 v20, v[80:81] offset:13056                    // 00000000609C: D89A3300 00005014
	ds_write_b64 v20, v[84:85] offset:21760                    // 0000000060A4: D89A5500 00005414
	ds_write_b64 v20, v[88:89] offset:6528                     // 0000000060AC: D89A1980 00005814
	ds_write_b64 v20, v[92:93] offset:15232                    // 0000000060B4: D89A3B80 00005C14
	ds_write_b64 v20, v[96:97] offset:23936                    // 0000000060BC: D89A5D80 00006014
	v_lshrrev_b32_e32 v4, 5, v0                                // 0000000060C4: 20080085
	v_xor_b32_e32 v5, 1, v4                                    // 0000000060C8: 2A0A0881
	s_mul_i32 s60, s65, 1                                      // 0000000060CC: 923C8141
	s_cmp_eq_u32 s88, 0                                        // 0000000060D0: BF068058
	s_cselect_b32 s61, 1, 8                                    // 0000000060D4: 853D8881
	s_mul_i32 s60, s61, s60                                    // 0000000060D8: 923C3C3D
	v_readlane_b32 s82, v3, 0                                  // 0000000060DC: D2890052 00010103
	s_lshr_b32 s61, s82, 24                                    // 0000000060E4: 8F3D9852
	s_and_b32 s82, s82, 0xffffff                               // 0000000060E8: 8652FF52 00FFFFFF
	s_mul_i32 s82, s82, s71                                    // 0000000060F0: 92524752
	s_mul_i32 s61, s60, s61                                    // 0000000060F4: 923D3D3C
	s_add_u32 s82, s82, s61                                    // 0000000060F8: 80523D52
	v_mul_lo_u32 v6, v5, s82                                   // 0000000060FC: D2850006 0000A505
	v_readlane_b32 s82, v3, 1                                  // 000000006104: D2890052 00010303
	s_lshr_b32 s61, s82, 24                                    // 00000000610C: 8F3D9852
	s_and_b32 s82, s82, 0xffffff                               // 000000006110: 8652FF52 00FFFFFF
	s_mul_i32 s82, s82, s71                                    // 000000006118: 92524752
	s_mul_i32 s61, s60, s61                                    // 00000000611C: 923D3D3C
	s_add_u32 s82, s82, s61                                    // 000000006120: 80523D52
	v_mul_lo_u32 v7, v4, s82                                   // 000000006124: D2850007 0000A504
	v_add_u32_e32 v40, v6, v7                                  // 00000000612C: 68500F06
	v_readlane_b32 s82, v3, 2                                  // 000000006130: D2890052 00010503
	s_lshr_b32 s61, s82, 24                                    // 000000006138: 8F3D9852
	s_and_b32 s82, s82, 0xffffff                               // 00000000613C: 8652FF52 00FFFFFF
	s_mul_i32 s82, s82, s71                                    // 000000006144: 92524752
	s_mul_i32 s61, s60, s61                                    // 000000006148: 923D3D3C
	s_add_u32 s82, s82, s61                                    // 00000000614C: 80523D52
	v_mul_lo_u32 v6, v5, s82                                   // 000000006150: D2850006 0000A505
	v_readlane_b32 s82, v3, 3                                  // 000000006158: D2890052 00010703
	s_lshr_b32 s61, s82, 24                                    // 000000006160: 8F3D9852
	s_and_b32 s82, s82, 0xffffff                               // 000000006164: 8652FF52 00FFFFFF
	s_mul_i32 s82, s82, s71                                    // 00000000616C: 92524752
	s_mul_i32 s61, s60, s61                                    // 000000006170: 923D3D3C
	s_add_u32 s82, s82, s61                                    // 000000006174: 80523D52
	v_mul_lo_u32 v7, v4, s82                                   // 000000006178: D2850007 0000A504
	v_add_u32_e32 v41, v6, v7                                  // 000000006180: 68520F06
	v_readlane_b32 s82, v3, 4                                  // 000000006184: D2890052 00010903
	s_lshr_b32 s61, s82, 24                                    // 00000000618C: 8F3D9852
	s_and_b32 s82, s82, 0xffffff                               // 000000006190: 8652FF52 00FFFFFF
	s_mul_i32 s82, s82, s71                                    // 000000006198: 92524752
	s_mul_i32 s61, s60, s61                                    // 00000000619C: 923D3D3C
	s_add_u32 s82, s82, s61                                    // 0000000061A0: 80523D52
	v_mul_lo_u32 v6, v5, s82                                   // 0000000061A4: D2850006 0000A505
	v_readlane_b32 s82, v3, 5                                  // 0000000061AC: D2890052 00010B03
	s_lshr_b32 s61, s82, 24                                    // 0000000061B4: 8F3D9852
	s_and_b32 s82, s82, 0xffffff                               // 0000000061B8: 8652FF52 00FFFFFF
	s_mul_i32 s82, s82, s71                                    // 0000000061C0: 92524752
	s_mul_i32 s61, s60, s61                                    // 0000000061C4: 923D3D3C
	s_add_u32 s82, s82, s61                                    // 0000000061C8: 80523D52
	v_mul_lo_u32 v7, v4, s82                                   // 0000000061CC: D2850007 0000A504
	v_add_u32_e32 v42, v6, v7                                  // 0000000061D4: 68540F06
	v_readlane_b32 s82, v3, 6                                  // 0000000061D8: D2890052 00010D03
	s_lshr_b32 s61, s82, 24                                    // 0000000061E0: 8F3D9852
	s_and_b32 s82, s82, 0xffffff                               // 0000000061E4: 8652FF52 00FFFFFF
	s_mul_i32 s82, s82, s71                                    // 0000000061EC: 92524752
	s_mul_i32 s61, s60, s61                                    // 0000000061F0: 923D3D3C
	s_add_u32 s82, s82, s61                                    // 0000000061F4: 80523D52
	v_mul_lo_u32 v6, v5, s82                                   // 0000000061F8: D2850006 0000A505
	v_readlane_b32 s82, v3, 7                                  // 000000006200: D2890052 00010F03
	s_lshr_b32 s61, s82, 24                                    // 000000006208: 8F3D9852
	s_and_b32 s82, s82, 0xffffff                               // 00000000620C: 8652FF52 00FFFFFF
	s_mul_i32 s82, s82, s71                                    // 000000006214: 92524752
	s_mul_i32 s61, s60, s61                                    // 000000006218: 923D3D3C
	s_add_u32 s82, s82, s61                                    // 00000000621C: 80523D52
	v_mul_lo_u32 v7, v4, s82                                   // 000000006220: D2850007 0000A504
	v_add_u32_e32 v43, v6, v7                                  // 000000006228: 68560F06
	v_readlane_b32 s82, v3, 8                                  // 00000000622C: D2890052 00011103
	s_lshr_b32 s61, s82, 24                                    // 000000006234: 8F3D9852
	s_and_b32 s82, s82, 0xffffff                               // 000000006238: 8652FF52 00FFFFFF
	s_mul_i32 s82, s82, s71                                    // 000000006240: 92524752
	s_mul_i32 s61, s60, s61                                    // 000000006244: 923D3D3C
	s_add_u32 s82, s82, s61                                    // 000000006248: 80523D52
	v_mul_lo_u32 v6, v5, s82                                   // 00000000624C: D2850006 0000A505
	v_readlane_b32 s82, v3, 9                                  // 000000006254: D2890052 00011303
	s_lshr_b32 s61, s82, 24                                    // 00000000625C: 8F3D9852
	s_and_b32 s82, s82, 0xffffff                               // 000000006260: 8652FF52 00FFFFFF
	s_mul_i32 s82, s82, s71                                    // 000000006268: 92524752
	s_mul_i32 s61, s60, s61                                    // 00000000626C: 923D3D3C
	s_add_u32 s82, s82, s61                                    // 000000006270: 80523D52
	v_mul_lo_u32 v7, v4, s82                                   // 000000006274: D2850007 0000A504
	v_add_u32_e32 v44, v6, v7                                  // 00000000627C: 68580F06
	v_readlane_b32 s82, v3, 10                                 // 000000006280: D2890052 00011503
	s_lshr_b32 s61, s82, 24                                    // 000000006288: 8F3D9852
	s_and_b32 s82, s82, 0xffffff                               // 00000000628C: 8652FF52 00FFFFFF
	s_mul_i32 s82, s82, s71                                    // 000000006294: 92524752
	s_mul_i32 s61, s60, s61                                    // 000000006298: 923D3D3C
	s_add_u32 s82, s82, s61                                    // 00000000629C: 80523D52
	v_mul_lo_u32 v6, v5, s82                                   // 0000000062A0: D2850006 0000A505
	v_readlane_b32 s82, v3, 11                                 // 0000000062A8: D2890052 00011703
	s_lshr_b32 s61, s82, 24                                    // 0000000062B0: 8F3D9852
	s_and_b32 s82, s82, 0xffffff                               // 0000000062B4: 8652FF52 00FFFFFF
	s_mul_i32 s82, s82, s71                                    // 0000000062BC: 92524752
	s_mul_i32 s61, s60, s61                                    // 0000000062C0: 923D3D3C
	s_add_u32 s82, s82, s61                                    // 0000000062C4: 80523D52
	v_mul_lo_u32 v7, v4, s82                                   // 0000000062C8: D2850007 0000A504
	v_add_u32_e32 v45, v6, v7                                  // 0000000062D0: 685A0F06
	v_and_b32_e32 v4, 31, v0                                   // 0000000062D4: 2608009F
	v_lshrrev_b32_e32 v4, 1, v4                                // 0000000062D8: 20080881
	s_cmp_eq_u32 s88, 0                                        // 0000000062DC: BF068058
	s_cselect_b32 s61, 2, 4                                    // 0000000062E0: 853D8482
	v_mul_lo_u32 v4, v4, s61                                   // 0000000062E4: D2850004 00007B04
	v_and_b32_e64 v5, v0, 1                                    // 0000000062EC: D1130005 00010300
	v_add_u32_e32 v4, v4, v5                                   // 0000000062F4: 68080B04
	v_lshlrev_b32_e32 v4, 2, v4                                // 0000000062F8: 24080882
	v_add_u32_e32 v40, v40, v4                                 // 0000000062FC: 68500928
	v_add_u32_e32 v41, v41, v4                                 // 000000006300: 68520929
	v_add_u32_e32 v42, v42, v4                                 // 000000006304: 6854092A
	v_add_u32_e32 v43, v43, v4                                 // 000000006308: 6856092B
	v_add_u32_e32 v44, v44, v4                                 // 00000000630C: 6858092C
	v_add_u32_e32 v45, v45, v4                                 // 000000006310: 685A092D
	s_waitcnt lgkmcnt(0)                                       // 000000006314: BF8CC07F
	s_barrier                                                  // 000000006318: BF8A0000
	ds_read_b32 v52, v21                                       // 00000000631C: D86C0000 34000015
	ds_read_b32 v53, v21 offset:64                             // 000000006324: D86C0040 35000015
	ds_read_b32 v56, v21 offset:2176                           // 00000000632C: D86C0880 38000015
	ds_read_b32 v57, v21 offset:2240                           // 000000006334: D86C08C0 39000015
	ds_read_b32 v60, v21 offset:4352                           // 00000000633C: D86C1100 3C000015
	ds_read_b32 v61, v21 offset:4416                           // 000000006344: D86C1140 3D000015
	ds_read_b32 v64, v21 offset:6528                           // 00000000634C: D86C1980 40000015
	ds_read_b32 v65, v21 offset:6592                           // 000000006354: D86C19C0 41000015
	ds_read_b32 v68, v21 offset:8704                           // 00000000635C: D86C2200 44000015
	ds_read_b32 v69, v21 offset:8768                           // 000000006364: D86C2240 45000015
	ds_read_b32 v72, v21 offset:10880                          // 00000000636C: D86C2A80 48000015
	ds_read_b32 v73, v21 offset:10944                          // 000000006374: D86C2AC0 49000015
	ds_read_b32 v76, v21 offset:13056                          // 00000000637C: D86C3300 4C000015
	ds_read_b32 v77, v21 offset:13120                          // 000000006384: D86C3340 4D000015
	ds_read_b32 v80, v21 offset:15232                          // 00000000638C: D86C3B80 50000015
	ds_read_b32 v81, v21 offset:15296                          // 000000006394: D86C3BC0 51000015
	ds_read_b32 v84, v21 offset:17408                          // 00000000639C: D86C4400 54000015
	ds_read_b32 v85, v21 offset:17472                          // 0000000063A4: D86C4440 55000015
	ds_read_b32 v88, v21 offset:19584                          // 0000000063AC: D86C4C80 58000015
	ds_read_b32 v89, v21 offset:19648                          // 0000000063B4: D86C4CC0 59000015
	ds_read_b32 v92, v21 offset:21760                          // 0000000063BC: D86C5500 5C000015
	ds_read_b32 v93, v21 offset:21824                          // 0000000063C4: D86C5540 5D000015
	ds_read_b32 v96, v21 offset:23936                          // 0000000063CC: D86C5D80 60000015
	ds_read_b32 v97, v21 offset:24000                          // 0000000063D4: D86C5DC0 61000015
	s_waitcnt lgkmcnt(0)                                       // 0000000063DC: BF8CC07F
	s_mov_b32 s36, -1                                          // 0000000063E0: BEA400C1
	s_mov_b32 s37, -1                                          // 0000000063E4: BEA500C1
	v_mov_b32_e32 v7, 0                                        // 0000000063E8: 7E0E0280
	s_mov_b64 exec, s[36:37]                                   // 0000000063EC: BEFE0124
	v_mov_b32_e32 v6, v40                                      // 0000000063F0: 7E0C0328
	s_mov_b64 s[60:61], 0                                      // 0000000063F4: BEBC0180
	v_readlane_b32 s82, v3, 0                                  // 0000000063F8: D2890052 00010103
	s_and_b32 s82, s82, 0xffffff                               // 000000006400: 8652FF52 00FFFFFF
	s_cmp_lt_u32 s82, s66                                      // 000000006408: BF0A4252
	s_cselect_b32 s20, s36, s60                                // 00000000640C: 85143C24
	v_readlane_b32 s82, v3, 1                                  // 000000006410: D2890052 00010303
	s_and_b32 s82, s82, 0xffffff                               // 000000006418: 8652FF52 00FFFFFF
	s_cmp_lt_u32 s82, s66                                      // 000000006420: BF0A4252
	s_cselect_b32 s21, s36, s60                                // 000000006424: 85153C24
	s_mov_b64 exec, s[20:21]                                   // 000000006428: BEFE0114
	global_atomic_add_f32 v6, v52, s[8:9]                      // 00000000642C: DD348000 00083406
	global_atomic_add_f32 v6, v56, s[8:9] offset:256           // 000000006434: DD348100 00083806
	global_atomic_add_f32 v6, v60, s[8:9] offset:512           // 00000000643C: DD348200 00083C06
	global_atomic_add_f32 v6, v64, s[8:9] offset:768           // 000000006444: DD348300 00084006
	s_mov_b64 exec, s[36:37]                                   // 00000000644C: BEFE0124
	v_mov_b32_e32 v6, v41                                      // 000000006450: 7E0C0329
	s_mov_b64 s[60:61], 0                                      // 000000006454: BEBC0180
	v_readlane_b32 s82, v3, 2                                  // 000000006458: D2890052 00010503
	s_and_b32 s82, s82, 0xffffff                               // 000000006460: 8652FF52 00FFFFFF
	s_cmp_lt_u32 s82, s66                                      // 000000006468: BF0A4252
	s_cselect_b32 s20, s36, s60                                // 00000000646C: 85143C24
	v_readlane_b32 s82, v3, 3                                  // 000000006470: D2890052 00010703
	s_and_b32 s82, s82, 0xffffff                               // 000000006478: 8652FF52 00FFFFFF
	s_cmp_lt_u32 s82, s66                                      // 000000006480: BF0A4252
	s_cselect_b32 s21, s36, s60                                // 000000006484: 85153C24
	s_mov_b64 exec, s[20:21]                                   // 000000006488: BEFE0114
	global_atomic_add_f32 v6, v53, s[8:9]                      // 00000000648C: DD348000 00083506
	global_atomic_add_f32 v6, v57, s[8:9] offset:256           // 000000006494: DD348100 00083906
	global_atomic_add_f32 v6, v61, s[8:9] offset:512           // 00000000649C: DD348200 00083D06
	global_atomic_add_f32 v6, v65, s[8:9] offset:768           // 0000000064A4: DD348300 00084106
	s_mov_b64 exec, s[36:37]                                   // 0000000064AC: BEFE0124
	v_mov_b32_e32 v6, v42                                      // 0000000064B0: 7E0C032A
	s_mov_b64 s[60:61], 0                                      // 0000000064B4: BEBC0180
	v_readlane_b32 s82, v3, 4                                  // 0000000064B8: D2890052 00010903
	s_and_b32 s82, s82, 0xffffff                               // 0000000064C0: 8652FF52 00FFFFFF
	s_cmp_lt_u32 s82, s66                                      // 0000000064C8: BF0A4252
	s_cselect_b32 s20, s36, s60                                // 0000000064CC: 85143C24
	v_readlane_b32 s82, v3, 5                                  // 0000000064D0: D2890052 00010B03
	s_and_b32 s82, s82, 0xffffff                               // 0000000064D8: 8652FF52 00FFFFFF
	s_cmp_lt_u32 s82, s66                                      // 0000000064E0: BF0A4252
	s_cselect_b32 s21, s36, s60                                // 0000000064E4: 85153C24
	s_mov_b64 exec, s[20:21]                                   // 0000000064E8: BEFE0114
	global_atomic_add_f32 v6, v68, s[8:9]                      // 0000000064EC: DD348000 00084406
	global_atomic_add_f32 v6, v72, s[8:9] offset:256           // 0000000064F4: DD348100 00084806
	global_atomic_add_f32 v6, v76, s[8:9] offset:512           // 0000000064FC: DD348200 00084C06
	global_atomic_add_f32 v6, v80, s[8:9] offset:768           // 000000006504: DD348300 00085006
	s_mov_b64 exec, s[36:37]                                   // 00000000650C: BEFE0124
	v_mov_b32_e32 v6, v43                                      // 000000006510: 7E0C032B
	s_mov_b64 s[60:61], 0                                      // 000000006514: BEBC0180
	v_readlane_b32 s82, v3, 6                                  // 000000006518: D2890052 00010D03
	s_and_b32 s82, s82, 0xffffff                               // 000000006520: 8652FF52 00FFFFFF
	s_cmp_lt_u32 s82, s66                                      // 000000006528: BF0A4252
	s_cselect_b32 s20, s36, s60                                // 00000000652C: 85143C24
	v_readlane_b32 s82, v3, 7                                  // 000000006530: D2890052 00010F03
	s_and_b32 s82, s82, 0xffffff                               // 000000006538: 8652FF52 00FFFFFF
	s_cmp_lt_u32 s82, s66                                      // 000000006540: BF0A4252
	s_cselect_b32 s21, s36, s60                                // 000000006544: 85153C24
	s_mov_b64 exec, s[20:21]                                   // 000000006548: BEFE0114
	global_atomic_add_f32 v6, v69, s[8:9]                      // 00000000654C: DD348000 00084506
	global_atomic_add_f32 v6, v73, s[8:9] offset:256           // 000000006554: DD348100 00084906
	global_atomic_add_f32 v6, v77, s[8:9] offset:512           // 00000000655C: DD348200 00084D06
	global_atomic_add_f32 v6, v81, s[8:9] offset:768           // 000000006564: DD348300 00085106
	s_mov_b64 exec, s[36:37]                                   // 00000000656C: BEFE0124
	v_mov_b32_e32 v6, v44                                      // 000000006570: 7E0C032C
	s_mov_b64 s[60:61], 0                                      // 000000006574: BEBC0180
	v_readlane_b32 s82, v3, 8                                  // 000000006578: D2890052 00011103
	s_and_b32 s82, s82, 0xffffff                               // 000000006580: 8652FF52 00FFFFFF
	s_cmp_lt_u32 s82, s66                                      // 000000006588: BF0A4252
	s_cselect_b32 s20, s36, s60                                // 00000000658C: 85143C24
	v_readlane_b32 s82, v3, 9                                  // 000000006590: D2890052 00011303
	s_and_b32 s82, s82, 0xffffff                               // 000000006598: 8652FF52 00FFFFFF
	s_cmp_lt_u32 s82, s66                                      // 0000000065A0: BF0A4252
	s_cselect_b32 s21, s36, s60                                // 0000000065A4: 85153C24
	s_mov_b64 exec, s[20:21]                                   // 0000000065A8: BEFE0114
	global_atomic_add_f32 v6, v84, s[8:9]                      // 0000000065AC: DD348000 00085406
	global_atomic_add_f32 v6, v88, s[8:9] offset:256           // 0000000065B4: DD348100 00085806
	global_atomic_add_f32 v6, v92, s[8:9] offset:512           // 0000000065BC: DD348200 00085C06
	global_atomic_add_f32 v6, v96, s[8:9] offset:768           // 0000000065C4: DD348300 00086006
	s_mov_b64 exec, s[36:37]                                   // 0000000065CC: BEFE0124
	v_mov_b32_e32 v6, v45                                      // 0000000065D0: 7E0C032D
	s_mov_b64 s[60:61], 0                                      // 0000000065D4: BEBC0180
	v_readlane_b32 s82, v3, 10                                 // 0000000065D8: D2890052 00011503
	s_and_b32 s82, s82, 0xffffff                               // 0000000065E0: 8652FF52 00FFFFFF
	s_cmp_lt_u32 s82, s66                                      // 0000000065E8: BF0A4252
	s_cselect_b32 s20, s36, s60                                // 0000000065EC: 85143C24
	v_readlane_b32 s82, v3, 11                                 // 0000000065F0: D2890052 00011703
	s_and_b32 s82, s82, 0xffffff                               // 0000000065F8: 8652FF52 00FFFFFF
	s_cmp_lt_u32 s82, s66                                      // 000000006600: BF0A4252
	s_cselect_b32 s21, s36, s60                                // 000000006604: 85153C24
	s_mov_b64 exec, s[20:21]                                   // 000000006608: BEFE0114
	global_atomic_add_f32 v6, v85, s[8:9]                      // 00000000660C: DD348000 00085506
	global_atomic_add_f32 v6, v89, s[8:9] offset:256           // 000000006614: DD348100 00085906
	global_atomic_add_f32 v6, v93, s[8:9] offset:512           // 00000000661C: DD348200 00085D06
	global_atomic_add_f32 v6, v97, s[8:9] offset:768           // 000000006624: DD348300 00086106
	s_mov_b64 exec, s[36:37]                                   // 00000000662C: BEFE0124
	ds_write_b64 v20, v[54:55]                                 // 000000006630: D89A0000 00003614
	ds_write_b64 v20, v[58:59] offset:8704                     // 000000006638: D89A2200 00003A14
	ds_write_b64 v20, v[62:63] offset:17408                    // 000000006640: D89A4400 00003E14
	ds_write_b64 v20, v[66:67] offset:2176                     // 000000006648: D89A0880 00004214
	ds_write_b64 v20, v[70:71] offset:10880                    // 000000006650: D89A2A80 00004614
	ds_write_b64 v20, v[74:75] offset:19584                    // 000000006658: D89A4C80 00004A14
	ds_write_b64 v20, v[78:79] offset:4352                     // 000000006660: D89A1100 00004E14
	ds_write_b64 v20, v[82:83] offset:13056                    // 000000006668: D89A3300 00005214
	ds_write_b64 v20, v[86:87] offset:21760                    // 000000006670: D89A5500 00005614
	ds_write_b64 v20, v[90:91] offset:6528                     // 000000006678: D89A1980 00005A14
	ds_write_b64 v20, v[94:95] offset:15232                    // 000000006680: D89A3B80 00005E14
	ds_write_b64 v20, v[98:99] offset:23936                    // 000000006688: D89A5D80 00006214
	s_waitcnt lgkmcnt(0)                                       // 000000006690: BF8CC07F
	s_barrier                                                  // 000000006694: BF8A0000
	ds_read_b32 v54, v21                                       // 000000006698: D86C0000 36000015
	ds_read_b32 v55, v21 offset:64                             // 0000000066A0: D86C0040 37000015
	ds_read_b32 v58, v21 offset:2176                           // 0000000066A8: D86C0880 3A000015
	ds_read_b32 v59, v21 offset:2240                           // 0000000066B0: D86C08C0 3B000015
	ds_read_b32 v62, v21 offset:4352                           // 0000000066B8: D86C1100 3E000015
	ds_read_b32 v63, v21 offset:4416                           // 0000000066C0: D86C1140 3F000015
	ds_read_b32 v66, v21 offset:6528                           // 0000000066C8: D86C1980 42000015
	ds_read_b32 v67, v21 offset:6592                           // 0000000066D0: D86C19C0 43000015
	ds_read_b32 v70, v21 offset:8704                           // 0000000066D8: D86C2200 46000015
	ds_read_b32 v71, v21 offset:8768                           // 0000000066E0: D86C2240 47000015
	ds_read_b32 v74, v21 offset:10880                          // 0000000066E8: D86C2A80 4A000015
	ds_read_b32 v75, v21 offset:10944                          // 0000000066F0: D86C2AC0 4B000015
	ds_read_b32 v78, v21 offset:13056                          // 0000000066F8: D86C3300 4E000015
	ds_read_b32 v79, v21 offset:13120                          // 000000006700: D86C3340 4F000015
	ds_read_b32 v82, v21 offset:15232                          // 000000006708: D86C3B80 52000015
	ds_read_b32 v83, v21 offset:15296                          // 000000006710: D86C3BC0 53000015
	ds_read_b32 v86, v21 offset:17408                          // 000000006718: D86C4400 56000015
	ds_read_b32 v87, v21 offset:17472                          // 000000006720: D86C4440 57000015
	ds_read_b32 v90, v21 offset:19584                          // 000000006728: D86C4C80 5A000015
	ds_read_b32 v91, v21 offset:19648                          // 000000006730: D86C4CC0 5B000015
	ds_read_b32 v94, v21 offset:21760                          // 000000006738: D86C5500 5E000015
	ds_read_b32 v95, v21 offset:21824                          // 000000006740: D86C5540 5F000015
	ds_read_b32 v98, v21 offset:23936                          // 000000006748: D86C5D80 62000015
	ds_read_b32 v99, v21 offset:24000                          // 000000006750: D86C5DC0 63000015
	s_waitcnt lgkmcnt(0)                                       // 000000006758: BF8CC07F
	v_mov_b32_e32 v7, 0                                        // 00000000675C: 7E0E0280
	s_mov_b64 exec, s[36:37]                                   // 000000006760: BEFE0124
	v_mov_b32_e32 v6, v40                                      // 000000006764: 7E0C0328
	s_mov_b64 s[60:61], 0                                      // 000000006768: BEBC0180
	v_readlane_b32 s82, v3, 0                                  // 00000000676C: D2890052 00010103
	s_and_b32 s82, s82, 0xffffff                               // 000000006774: 8652FF52 00FFFFFF
	s_cmp_lt_u32 s82, s66                                      // 00000000677C: BF0A4252
	s_cselect_b32 s20, s36, s60                                // 000000006780: 85143C24
	v_readlane_b32 s82, v3, 1                                  // 000000006784: D2890052 00010303
	s_and_b32 s82, s82, 0xffffff                               // 00000000678C: 8652FF52 00FFFFFF
	s_cmp_lt_u32 s82, s66                                      // 000000006794: BF0A4252
	s_cselect_b32 s21, s36, s60                                // 000000006798: 85153C24
	s_mov_b64 exec, s[20:21]                                   // 00000000679C: BEFE0114
	global_atomic_add_f32 v6, v54, s[8:9] offset:8             // 0000000067A0: DD348008 00083606
	global_atomic_add_f32 v6, v58, s[8:9] offset:264           // 0000000067A8: DD348108 00083A06
	global_atomic_add_f32 v6, v62, s[8:9] offset:520           // 0000000067B0: DD348208 00083E06
	global_atomic_add_f32 v6, v66, s[8:9] offset:776           // 0000000067B8: DD348308 00084206
	s_mov_b64 exec, s[36:37]                                   // 0000000067C0: BEFE0124
	v_mov_b32_e32 v6, v41                                      // 0000000067C4: 7E0C0329
	s_mov_b64 s[60:61], 0                                      // 0000000067C8: BEBC0180
	v_readlane_b32 s82, v3, 2                                  // 0000000067CC: D2890052 00010503
	s_and_b32 s82, s82, 0xffffff                               // 0000000067D4: 8652FF52 00FFFFFF
	s_cmp_lt_u32 s82, s66                                      // 0000000067DC: BF0A4252
	s_cselect_b32 s20, s36, s60                                // 0000000067E0: 85143C24
	v_readlane_b32 s82, v3, 3                                  // 0000000067E4: D2890052 00010703
	s_and_b32 s82, s82, 0xffffff                               // 0000000067EC: 8652FF52 00FFFFFF
	s_cmp_lt_u32 s82, s66                                      // 0000000067F4: BF0A4252
	s_cselect_b32 s21, s36, s60                                // 0000000067F8: 85153C24
	s_mov_b64 exec, s[20:21]                                   // 0000000067FC: BEFE0114
	global_atomic_add_f32 v6, v55, s[8:9] offset:8             // 000000006800: DD348008 00083706
	global_atomic_add_f32 v6, v59, s[8:9] offset:264           // 000000006808: DD348108 00083B06
	global_atomic_add_f32 v6, v63, s[8:9] offset:520           // 000000006810: DD348208 00083F06
	global_atomic_add_f32 v6, v67, s[8:9] offset:776           // 000000006818: DD348308 00084306
	s_mov_b64 exec, s[36:37]                                   // 000000006820: BEFE0124
	v_mov_b32_e32 v6, v42                                      // 000000006824: 7E0C032A
	s_mov_b64 s[60:61], 0                                      // 000000006828: BEBC0180
	v_readlane_b32 s82, v3, 4                                  // 00000000682C: D2890052 00010903
	s_and_b32 s82, s82, 0xffffff                               // 000000006834: 8652FF52 00FFFFFF
	s_cmp_lt_u32 s82, s66                                      // 00000000683C: BF0A4252
	s_cselect_b32 s20, s36, s60                                // 000000006840: 85143C24
	v_readlane_b32 s82, v3, 5                                  // 000000006844: D2890052 00010B03
	s_and_b32 s82, s82, 0xffffff                               // 00000000684C: 8652FF52 00FFFFFF
	s_cmp_lt_u32 s82, s66                                      // 000000006854: BF0A4252
	s_cselect_b32 s21, s36, s60                                // 000000006858: 85153C24
	s_mov_b64 exec, s[20:21]                                   // 00000000685C: BEFE0114
	global_atomic_add_f32 v6, v70, s[8:9] offset:8             // 000000006860: DD348008 00084606
	global_atomic_add_f32 v6, v74, s[8:9] offset:264           // 000000006868: DD348108 00084A06
	global_atomic_add_f32 v6, v78, s[8:9] offset:520           // 000000006870: DD348208 00084E06
	global_atomic_add_f32 v6, v82, s[8:9] offset:776           // 000000006878: DD348308 00085206
	s_mov_b64 exec, s[36:37]                                   // 000000006880: BEFE0124
	v_mov_b32_e32 v6, v43                                      // 000000006884: 7E0C032B
	s_mov_b64 s[60:61], 0                                      // 000000006888: BEBC0180
	v_readlane_b32 s82, v3, 6                                  // 00000000688C: D2890052 00010D03
	s_and_b32 s82, s82, 0xffffff                               // 000000006894: 8652FF52 00FFFFFF
	s_cmp_lt_u32 s82, s66                                      // 00000000689C: BF0A4252
	s_cselect_b32 s20, s36, s60                                // 0000000068A0: 85143C24
	v_readlane_b32 s82, v3, 7                                  // 0000000068A4: D2890052 00010F03
	s_and_b32 s82, s82, 0xffffff                               // 0000000068AC: 8652FF52 00FFFFFF
	s_cmp_lt_u32 s82, s66                                      // 0000000068B4: BF0A4252
	s_cselect_b32 s21, s36, s60                                // 0000000068B8: 85153C24
	s_mov_b64 exec, s[20:21]                                   // 0000000068BC: BEFE0114
	global_atomic_add_f32 v6, v71, s[8:9] offset:8             // 0000000068C0: DD348008 00084706
	global_atomic_add_f32 v6, v75, s[8:9] offset:264           // 0000000068C8: DD348108 00084B06
	global_atomic_add_f32 v6, v79, s[8:9] offset:520           // 0000000068D0: DD348208 00084F06
	global_atomic_add_f32 v6, v83, s[8:9] offset:776           // 0000000068D8: DD348308 00085306
	s_mov_b64 exec, s[36:37]                                   // 0000000068E0: BEFE0124
	v_mov_b32_e32 v6, v44                                      // 0000000068E4: 7E0C032C
	s_mov_b64 s[60:61], 0                                      // 0000000068E8: BEBC0180
	v_readlane_b32 s82, v3, 8                                  // 0000000068EC: D2890052 00011103
	s_and_b32 s82, s82, 0xffffff                               // 0000000068F4: 8652FF52 00FFFFFF
	s_cmp_lt_u32 s82, s66                                      // 0000000068FC: BF0A4252
	s_cselect_b32 s20, s36, s60                                // 000000006900: 85143C24
	v_readlane_b32 s82, v3, 9                                  // 000000006904: D2890052 00011303
	s_and_b32 s82, s82, 0xffffff                               // 00000000690C: 8652FF52 00FFFFFF
	s_cmp_lt_u32 s82, s66                                      // 000000006914: BF0A4252
	s_cselect_b32 s21, s36, s60                                // 000000006918: 85153C24
	s_mov_b64 exec, s[20:21]                                   // 00000000691C: BEFE0114
	global_atomic_add_f32 v6, v86, s[8:9] offset:8             // 000000006920: DD348008 00085606
	global_atomic_add_f32 v6, v90, s[8:9] offset:264           // 000000006928: DD348108 00085A06
	global_atomic_add_f32 v6, v94, s[8:9] offset:520           // 000000006930: DD348208 00085E06
	global_atomic_add_f32 v6, v98, s[8:9] offset:776           // 000000006938: DD348308 00086206
	s_mov_b64 exec, s[36:37]                                   // 000000006940: BEFE0124
	v_mov_b32_e32 v6, v45                                      // 000000006944: 7E0C032D
	s_mov_b64 s[60:61], 0                                      // 000000006948: BEBC0180
	v_readlane_b32 s82, v3, 10                                 // 00000000694C: D2890052 00011503
	s_and_b32 s82, s82, 0xffffff                               // 000000006954: 8652FF52 00FFFFFF
	s_cmp_lt_u32 s82, s66                                      // 00000000695C: BF0A4252
	s_cselect_b32 s20, s36, s60                                // 000000006960: 85143C24
	v_readlane_b32 s82, v3, 11                                 // 000000006964: D2890052 00011703
	s_and_b32 s82, s82, 0xffffff                               // 00000000696C: 8652FF52 00FFFFFF
	s_cmp_lt_u32 s82, s66                                      // 000000006974: BF0A4252
	s_cselect_b32 s21, s36, s60                                // 000000006978: 85153C24
	s_mov_b64 exec, s[20:21]                                   // 00000000697C: BEFE0114
	global_atomic_add_f32 v6, v87, s[8:9] offset:8             // 000000006980: DD348008 00085706
	global_atomic_add_f32 v6, v91, s[8:9] offset:264           // 000000006988: DD348108 00085B06
	global_atomic_add_f32 v6, v95, s[8:9] offset:520           // 000000006990: DD348208 00085F06
	global_atomic_add_f32 v6, v99, s[8:9] offset:776           // 000000006998: DD348308 00086306
	s_mov_b64 exec, s[36:37]                                   // 0000000069A0: BEFE0124
	ds_write_b64 v20, v[100:101]                               // 0000000069A4: D89A0000 00006414
	ds_write_b64 v20, v[104:105] offset:8704                   // 0000000069AC: D89A2200 00006814
	ds_write_b64 v20, v[108:109] offset:17408                  // 0000000069B4: D89A4400 00006C14
	ds_write_b64 v20, v[112:113] offset:2176                   // 0000000069BC: D89A0880 00007014
	ds_write_b64 v20, v[116:117] offset:10880                  // 0000000069C4: D89A2A80 00007414
	ds_write_b64 v20, v[120:121] offset:19584                  // 0000000069CC: D89A4C80 00007814
	ds_write_b64 v20, v[124:125] offset:4352                   // 0000000069D4: D89A1100 00007C14
	ds_write_b64 v20, v[128:129] offset:13056                  // 0000000069DC: D89A3300 00008014
	ds_write_b64 v20, v[132:133] offset:21760                  // 0000000069E4: D89A5500 00008414
	ds_write_b64 v20, v[136:137] offset:6528                   // 0000000069EC: D89A1980 00008814
	ds_write_b64 v20, v[140:141] offset:15232                  // 0000000069F4: D89A3B80 00008C14
	ds_write_b64 v20, v[144:145] offset:23936                  // 0000000069FC: D89A5D80 00009014
	s_waitcnt lgkmcnt(0)                                       // 000000006A04: BF8CC07F
	s_barrier                                                  // 000000006A08: BF8A0000
	ds_read_b32 v100, v21                                      // 000000006A0C: D86C0000 64000015
	ds_read_b32 v101, v21 offset:64                            // 000000006A14: D86C0040 65000015
	ds_read_b32 v104, v21 offset:2176                          // 000000006A1C: D86C0880 68000015
	ds_read_b32 v105, v21 offset:2240                          // 000000006A24: D86C08C0 69000015
	ds_read_b32 v108, v21 offset:4352                          // 000000006A2C: D86C1100 6C000015
	ds_read_b32 v109, v21 offset:4416                          // 000000006A34: D86C1140 6D000015
	ds_read_b32 v112, v21 offset:6528                          // 000000006A3C: D86C1980 70000015
	ds_read_b32 v113, v21 offset:6592                          // 000000006A44: D86C19C0 71000015
	ds_read_b32 v116, v21 offset:8704                          // 000000006A4C: D86C2200 74000015
	ds_read_b32 v117, v21 offset:8768                          // 000000006A54: D86C2240 75000015
	ds_read_b32 v120, v21 offset:10880                         // 000000006A5C: D86C2A80 78000015
	ds_read_b32 v121, v21 offset:10944                         // 000000006A64: D86C2AC0 79000015
	ds_read_b32 v124, v21 offset:13056                         // 000000006A6C: D86C3300 7C000015
	ds_read_b32 v125, v21 offset:13120                         // 000000006A74: D86C3340 7D000015
	ds_read_b32 v128, v21 offset:15232                         // 000000006A7C: D86C3B80 80000015
	ds_read_b32 v129, v21 offset:15296                         // 000000006A84: D86C3BC0 81000015
	ds_read_b32 v132, v21 offset:17408                         // 000000006A8C: D86C4400 84000015
	ds_read_b32 v133, v21 offset:17472                         // 000000006A94: D86C4440 85000015
	ds_read_b32 v136, v21 offset:19584                         // 000000006A9C: D86C4C80 88000015
	ds_read_b32 v137, v21 offset:19648                         // 000000006AA4: D86C4CC0 89000015
	ds_read_b32 v140, v21 offset:21760                         // 000000006AAC: D86C5500 8C000015
	ds_read_b32 v141, v21 offset:21824                         // 000000006AB4: D86C5540 8D000015
	ds_read_b32 v144, v21 offset:23936                         // 000000006ABC: D86C5D80 90000015
	ds_read_b32 v145, v21 offset:24000                         // 000000006AC4: D86C5DC0 91000015
	s_mul_i32 s60, s65, 4                                      // 000000006ACC: 923C8441
	s_add_u32 s8, s60, s8                                      // 000000006AD0: 8008083C
	s_addc_u32 s9, 0, s9                                       // 000000006AD4: 82090980
	s_waitcnt lgkmcnt(0)                                       // 000000006AD8: BF8CC07F
	v_mov_b32_e32 v7, 0                                        // 000000006ADC: 7E0E0280
	s_mov_b64 exec, s[36:37]                                   // 000000006AE0: BEFE0124
	v_mov_b32_e32 v6, v40                                      // 000000006AE4: 7E0C0328
	s_mov_b64 s[60:61], 0                                      // 000000006AE8: BEBC0180
	v_readlane_b32 s82, v3, 0                                  // 000000006AEC: D2890052 00010103
	s_and_b32 s82, s82, 0xffffff                               // 000000006AF4: 8652FF52 00FFFFFF
	s_cmp_lt_u32 s82, s66                                      // 000000006AFC: BF0A4252
	s_cselect_b32 s20, s36, s60                                // 000000006B00: 85143C24
	v_readlane_b32 s82, v3, 1                                  // 000000006B04: D2890052 00010303
	s_and_b32 s82, s82, 0xffffff                               // 000000006B0C: 8652FF52 00FFFFFF
	s_cmp_lt_u32 s82, s66                                      // 000000006B14: BF0A4252
	s_cselect_b32 s21, s36, s60                                // 000000006B18: 85153C24
	s_mov_b64 exec, s[20:21]                                   // 000000006B1C: BEFE0114
	global_atomic_add_f32 v6, v100, s[8:9]                     // 000000006B20: DD348000 00086406
	global_atomic_add_f32 v6, v104, s[8:9] offset:256          // 000000006B28: DD348100 00086806
	global_atomic_add_f32 v6, v108, s[8:9] offset:512          // 000000006B30: DD348200 00086C06
	global_atomic_add_f32 v6, v112, s[8:9] offset:768          // 000000006B38: DD348300 00087006
	s_mov_b64 exec, s[36:37]                                   // 000000006B40: BEFE0124
	v_mov_b32_e32 v6, v41                                      // 000000006B44: 7E0C0329
	s_mov_b64 s[60:61], 0                                      // 000000006B48: BEBC0180
	v_readlane_b32 s82, v3, 2                                  // 000000006B4C: D2890052 00010503
	s_and_b32 s82, s82, 0xffffff                               // 000000006B54: 8652FF52 00FFFFFF
	s_cmp_lt_u32 s82, s66                                      // 000000006B5C: BF0A4252
	s_cselect_b32 s20, s36, s60                                // 000000006B60: 85143C24
	v_readlane_b32 s82, v3, 3                                  // 000000006B64: D2890052 00010703
	s_and_b32 s82, s82, 0xffffff                               // 000000006B6C: 8652FF52 00FFFFFF
	s_cmp_lt_u32 s82, s66                                      // 000000006B74: BF0A4252
	s_cselect_b32 s21, s36, s60                                // 000000006B78: 85153C24
	s_mov_b64 exec, s[20:21]                                   // 000000006B7C: BEFE0114
	global_atomic_add_f32 v6, v101, s[8:9]                     // 000000006B80: DD348000 00086506
	global_atomic_add_f32 v6, v105, s[8:9] offset:256          // 000000006B88: DD348100 00086906
	global_atomic_add_f32 v6, v109, s[8:9] offset:512          // 000000006B90: DD348200 00086D06
	global_atomic_add_f32 v6, v113, s[8:9] offset:768          // 000000006B98: DD348300 00087106
	s_mov_b64 exec, s[36:37]                                   // 000000006BA0: BEFE0124
	v_mov_b32_e32 v6, v42                                      // 000000006BA4: 7E0C032A
	s_mov_b64 s[60:61], 0                                      // 000000006BA8: BEBC0180
	v_readlane_b32 s82, v3, 4                                  // 000000006BAC: D2890052 00010903
	s_and_b32 s82, s82, 0xffffff                               // 000000006BB4: 8652FF52 00FFFFFF
	s_cmp_lt_u32 s82, s66                                      // 000000006BBC: BF0A4252
	s_cselect_b32 s20, s36, s60                                // 000000006BC0: 85143C24
	v_readlane_b32 s82, v3, 5                                  // 000000006BC4: D2890052 00010B03
	s_and_b32 s82, s82, 0xffffff                               // 000000006BCC: 8652FF52 00FFFFFF
	s_cmp_lt_u32 s82, s66                                      // 000000006BD4: BF0A4252
	s_cselect_b32 s21, s36, s60                                // 000000006BD8: 85153C24
	s_mov_b64 exec, s[20:21]                                   // 000000006BDC: BEFE0114
	global_atomic_add_f32 v6, v116, s[8:9]                     // 000000006BE0: DD348000 00087406
	global_atomic_add_f32 v6, v120, s[8:9] offset:256          // 000000006BE8: DD348100 00087806
	global_atomic_add_f32 v6, v124, s[8:9] offset:512          // 000000006BF0: DD348200 00087C06
	global_atomic_add_f32 v6, v128, s[8:9] offset:768          // 000000006BF8: DD348300 00088006
	s_mov_b64 exec, s[36:37]                                   // 000000006C00: BEFE0124
	v_mov_b32_e32 v6, v43                                      // 000000006C04: 7E0C032B
	s_mov_b64 s[60:61], 0                                      // 000000006C08: BEBC0180
	v_readlane_b32 s82, v3, 6                                  // 000000006C0C: D2890052 00010D03
	s_and_b32 s82, s82, 0xffffff                               // 000000006C14: 8652FF52 00FFFFFF
	s_cmp_lt_u32 s82, s66                                      // 000000006C1C: BF0A4252
	s_cselect_b32 s20, s36, s60                                // 000000006C20: 85143C24
	v_readlane_b32 s82, v3, 7                                  // 000000006C24: D2890052 00010F03
	s_and_b32 s82, s82, 0xffffff                               // 000000006C2C: 8652FF52 00FFFFFF
	s_cmp_lt_u32 s82, s66                                      // 000000006C34: BF0A4252
	s_cselect_b32 s21, s36, s60                                // 000000006C38: 85153C24
	s_mov_b64 exec, s[20:21]                                   // 000000006C3C: BEFE0114
	global_atomic_add_f32 v6, v117, s[8:9]                     // 000000006C40: DD348000 00087506
	global_atomic_add_f32 v6, v121, s[8:9] offset:256          // 000000006C48: DD348100 00087906
	global_atomic_add_f32 v6, v125, s[8:9] offset:512          // 000000006C50: DD348200 00087D06
	global_atomic_add_f32 v6, v129, s[8:9] offset:768          // 000000006C58: DD348300 00088106
	s_mov_b64 exec, s[36:37]                                   // 000000006C60: BEFE0124
	v_mov_b32_e32 v6, v44                                      // 000000006C64: 7E0C032C
	s_mov_b64 s[60:61], 0                                      // 000000006C68: BEBC0180
	v_readlane_b32 s82, v3, 8                                  // 000000006C6C: D2890052 00011103
	s_and_b32 s82, s82, 0xffffff                               // 000000006C74: 8652FF52 00FFFFFF
	s_cmp_lt_u32 s82, s66                                      // 000000006C7C: BF0A4252
	s_cselect_b32 s20, s36, s60                                // 000000006C80: 85143C24
	v_readlane_b32 s82, v3, 9                                  // 000000006C84: D2890052 00011303
	s_and_b32 s82, s82, 0xffffff                               // 000000006C8C: 8652FF52 00FFFFFF
	s_cmp_lt_u32 s82, s66                                      // 000000006C94: BF0A4252
	s_cselect_b32 s21, s36, s60                                // 000000006C98: 85153C24
	s_mov_b64 exec, s[20:21]                                   // 000000006C9C: BEFE0114
	global_atomic_add_f32 v6, v132, s[8:9]                     // 000000006CA0: DD348000 00088406
	global_atomic_add_f32 v6, v136, s[8:9] offset:256          // 000000006CA8: DD348100 00088806
	global_atomic_add_f32 v6, v140, s[8:9] offset:512          // 000000006CB0: DD348200 00088C06
	global_atomic_add_f32 v6, v144, s[8:9] offset:768          // 000000006CB8: DD348300 00089006
	s_mov_b64 exec, s[36:37]                                   // 000000006CC0: BEFE0124
	v_mov_b32_e32 v6, v45                                      // 000000006CC4: 7E0C032D
	s_mov_b64 s[60:61], 0                                      // 000000006CC8: BEBC0180
	v_readlane_b32 s82, v3, 10                                 // 000000006CCC: D2890052 00011503
	s_and_b32 s82, s82, 0xffffff                               // 000000006CD4: 8652FF52 00FFFFFF
	s_cmp_lt_u32 s82, s66                                      // 000000006CDC: BF0A4252
	s_cselect_b32 s20, s36, s60                                // 000000006CE0: 85143C24
	v_readlane_b32 s82, v3, 11                                 // 000000006CE4: D2890052 00011703
	s_and_b32 s82, s82, 0xffffff                               // 000000006CEC: 8652FF52 00FFFFFF
	s_cmp_lt_u32 s82, s66                                      // 000000006CF4: BF0A4252
	s_cselect_b32 s21, s36, s60                                // 000000006CF8: 85153C24
	s_mov_b64 exec, s[20:21]                                   // 000000006CFC: BEFE0114
	global_atomic_add_f32 v6, v133, s[8:9]                     // 000000006D00: DD348000 00088506
	global_atomic_add_f32 v6, v137, s[8:9] offset:256          // 000000006D08: DD348100 00088906
	global_atomic_add_f32 v6, v141, s[8:9] offset:512          // 000000006D10: DD348200 00088D06
	global_atomic_add_f32 v6, v145, s[8:9] offset:768          // 000000006D18: DD348300 00089106
	s_mov_b64 exec, s[36:37]                                   // 000000006D20: BEFE0124
	ds_write_b64 v20, v[102:103]                               // 000000006D24: D89A0000 00006614
	ds_write_b64 v20, v[106:107] offset:8704                   // 000000006D2C: D89A2200 00006A14
	ds_write_b64 v20, v[110:111] offset:17408                  // 000000006D34: D89A4400 00006E14
	ds_write_b64 v20, v[114:115] offset:2176                   // 000000006D3C: D89A0880 00007214
	ds_write_b64 v20, v[118:119] offset:10880                  // 000000006D44: D89A2A80 00007614
	ds_write_b64 v20, v[122:123] offset:19584                  // 000000006D4C: D89A4C80 00007A14
	ds_write_b64 v20, v[126:127] offset:4352                   // 000000006D54: D89A1100 00007E14
	ds_write_b64 v20, v[130:131] offset:13056                  // 000000006D5C: D89A3300 00008214
	ds_write_b64 v20, v[134:135] offset:21760                  // 000000006D64: D89A5500 00008614
	ds_write_b64 v20, v[138:139] offset:6528                   // 000000006D6C: D89A1980 00008A14
	ds_write_b64 v20, v[142:143] offset:15232                  // 000000006D74: D89A3B80 00008E14
	ds_write_b64 v20, v[146:147] offset:23936                  // 000000006D7C: D89A5D80 00009214
	s_waitcnt lgkmcnt(0)                                       // 000000006D84: BF8CC07F
	s_barrier                                                  // 000000006D88: BF8A0000
	ds_read_b32 v102, v21                                      // 000000006D8C: D86C0000 66000015
	ds_read_b32 v103, v21 offset:64                            // 000000006D94: D86C0040 67000015
	ds_read_b32 v106, v21 offset:2176                          // 000000006D9C: D86C0880 6A000015
	ds_read_b32 v107, v21 offset:2240                          // 000000006DA4: D86C08C0 6B000015
	ds_read_b32 v110, v21 offset:4352                          // 000000006DAC: D86C1100 6E000015
	ds_read_b32 v111, v21 offset:4416                          // 000000006DB4: D86C1140 6F000015
	ds_read_b32 v114, v21 offset:6528                          // 000000006DBC: D86C1980 72000015
	ds_read_b32 v115, v21 offset:6592                          // 000000006DC4: D86C19C0 73000015
	ds_read_b32 v118, v21 offset:8704                          // 000000006DCC: D86C2200 76000015
	ds_read_b32 v119, v21 offset:8768                          // 000000006DD4: D86C2240 77000015
	ds_read_b32 v122, v21 offset:10880                         // 000000006DDC: D86C2A80 7A000015
	ds_read_b32 v123, v21 offset:10944                         // 000000006DE4: D86C2AC0 7B000015
	ds_read_b32 v126, v21 offset:13056                         // 000000006DEC: D86C3300 7E000015
	ds_read_b32 v127, v21 offset:13120                         // 000000006DF4: D86C3340 7F000015
	ds_read_b32 v130, v21 offset:15232                         // 000000006DFC: D86C3B80 82000015
	ds_read_b32 v131, v21 offset:15296                         // 000000006E04: D86C3BC0 83000015
	ds_read_b32 v134, v21 offset:17408                         // 000000006E0C: D86C4400 86000015
	ds_read_b32 v135, v21 offset:17472                         // 000000006E14: D86C4440 87000015
	ds_read_b32 v138, v21 offset:19584                         // 000000006E1C: D86C4C80 8A000015
	ds_read_b32 v139, v21 offset:19648                         // 000000006E24: D86C4CC0 8B000015
	ds_read_b32 v142, v21 offset:21760                         // 000000006E2C: D86C5500 8E000015
	ds_read_b32 v143, v21 offset:21824                         // 000000006E34: D86C5540 8F000015
	ds_read_b32 v146, v21 offset:23936                         // 000000006E3C: D86C5D80 92000015
	ds_read_b32 v147, v21 offset:24000                         // 000000006E44: D86C5DC0 93000015
	s_waitcnt lgkmcnt(0)                                       // 000000006E4C: BF8CC07F
	v_mov_b32_e32 v7, 0                                        // 000000006E50: 7E0E0280
	s_mov_b64 exec, s[36:37]                                   // 000000006E54: BEFE0124
	v_mov_b32_e32 v6, v40                                      // 000000006E58: 7E0C0328
	s_mov_b64 s[60:61], 0                                      // 000000006E5C: BEBC0180
	v_readlane_b32 s82, v3, 0                                  // 000000006E60: D2890052 00010103
	s_and_b32 s82, s82, 0xffffff                               // 000000006E68: 8652FF52 00FFFFFF
	s_cmp_lt_u32 s82, s66                                      // 000000006E70: BF0A4252
	s_cselect_b32 s20, s36, s60                                // 000000006E74: 85143C24
	v_readlane_b32 s82, v3, 1                                  // 000000006E78: D2890052 00010303
	s_and_b32 s82, s82, 0xffffff                               // 000000006E80: 8652FF52 00FFFFFF
	s_cmp_lt_u32 s82, s66                                      // 000000006E88: BF0A4252
	s_cselect_b32 s21, s36, s60                                // 000000006E8C: 85153C24
	s_mov_b64 exec, s[20:21]                                   // 000000006E90: BEFE0114
	global_atomic_add_f32 v6, v102, s[8:9] offset:8            // 000000006E94: DD348008 00086606
	global_atomic_add_f32 v6, v106, s[8:9] offset:264          // 000000006E9C: DD348108 00086A06
	global_atomic_add_f32 v6, v110, s[8:9] offset:520          // 000000006EA4: DD348208 00086E06
	global_atomic_add_f32 v6, v114, s[8:9] offset:776          // 000000006EAC: DD348308 00087206
	s_mov_b64 exec, s[36:37]                                   // 000000006EB4: BEFE0124
	v_mov_b32_e32 v6, v41                                      // 000000006EB8: 7E0C0329
	s_mov_b64 s[60:61], 0                                      // 000000006EBC: BEBC0180
	v_readlane_b32 s82, v3, 2                                  // 000000006EC0: D2890052 00010503
	s_and_b32 s82, s82, 0xffffff                               // 000000006EC8: 8652FF52 00FFFFFF
	s_cmp_lt_u32 s82, s66                                      // 000000006ED0: BF0A4252
	s_cselect_b32 s20, s36, s60                                // 000000006ED4: 85143C24
	v_readlane_b32 s82, v3, 3                                  // 000000006ED8: D2890052 00010703
	s_and_b32 s82, s82, 0xffffff                               // 000000006EE0: 8652FF52 00FFFFFF
	s_cmp_lt_u32 s82, s66                                      // 000000006EE8: BF0A4252
	s_cselect_b32 s21, s36, s60                                // 000000006EEC: 85153C24
	s_mov_b64 exec, s[20:21]                                   // 000000006EF0: BEFE0114
	global_atomic_add_f32 v6, v103, s[8:9] offset:8            // 000000006EF4: DD348008 00086706
	global_atomic_add_f32 v6, v107, s[8:9] offset:264          // 000000006EFC: DD348108 00086B06
	global_atomic_add_f32 v6, v111, s[8:9] offset:520          // 000000006F04: DD348208 00086F06
	global_atomic_add_f32 v6, v115, s[8:9] offset:776          // 000000006F0C: DD348308 00087306
	s_mov_b64 exec, s[36:37]                                   // 000000006F14: BEFE0124
	v_mov_b32_e32 v6, v42                                      // 000000006F18: 7E0C032A
	s_mov_b64 s[60:61], 0                                      // 000000006F1C: BEBC0180
	v_readlane_b32 s82, v3, 4                                  // 000000006F20: D2890052 00010903
	s_and_b32 s82, s82, 0xffffff                               // 000000006F28: 8652FF52 00FFFFFF
	s_cmp_lt_u32 s82, s66                                      // 000000006F30: BF0A4252
	s_cselect_b32 s20, s36, s60                                // 000000006F34: 85143C24
	v_readlane_b32 s82, v3, 5                                  // 000000006F38: D2890052 00010B03
	s_and_b32 s82, s82, 0xffffff                               // 000000006F40: 8652FF52 00FFFFFF
	s_cmp_lt_u32 s82, s66                                      // 000000006F48: BF0A4252
	s_cselect_b32 s21, s36, s60                                // 000000006F4C: 85153C24
	s_mov_b64 exec, s[20:21]                                   // 000000006F50: BEFE0114
	global_atomic_add_f32 v6, v118, s[8:9] offset:8            // 000000006F54: DD348008 00087606
	global_atomic_add_f32 v6, v122, s[8:9] offset:264          // 000000006F5C: DD348108 00087A06
	global_atomic_add_f32 v6, v126, s[8:9] offset:520          // 000000006F64: DD348208 00087E06
	global_atomic_add_f32 v6, v130, s[8:9] offset:776          // 000000006F6C: DD348308 00088206
	s_mov_b64 exec, s[36:37]                                   // 000000006F74: BEFE0124
	v_mov_b32_e32 v6, v43                                      // 000000006F78: 7E0C032B
	s_mov_b64 s[60:61], 0                                      // 000000006F7C: BEBC0180
	v_readlane_b32 s82, v3, 6                                  // 000000006F80: D2890052 00010D03
	s_and_b32 s82, s82, 0xffffff                               // 000000006F88: 8652FF52 00FFFFFF
	s_cmp_lt_u32 s82, s66                                      // 000000006F90: BF0A4252
	s_cselect_b32 s20, s36, s60                                // 000000006F94: 85143C24
	v_readlane_b32 s82, v3, 7                                  // 000000006F98: D2890052 00010F03
	s_and_b32 s82, s82, 0xffffff                               // 000000006FA0: 8652FF52 00FFFFFF
	s_cmp_lt_u32 s82, s66                                      // 000000006FA8: BF0A4252
	s_cselect_b32 s21, s36, s60                                // 000000006FAC: 85153C24
	s_mov_b64 exec, s[20:21]                                   // 000000006FB0: BEFE0114
	global_atomic_add_f32 v6, v119, s[8:9] offset:8            // 000000006FB4: DD348008 00087706
	global_atomic_add_f32 v6, v123, s[8:9] offset:264          // 000000006FBC: DD348108 00087B06
	global_atomic_add_f32 v6, v127, s[8:9] offset:520          // 000000006FC4: DD348208 00087F06
	global_atomic_add_f32 v6, v131, s[8:9] offset:776          // 000000006FCC: DD348308 00088306
	s_mov_b64 exec, s[36:37]                                   // 000000006FD4: BEFE0124
	v_mov_b32_e32 v6, v44                                      // 000000006FD8: 7E0C032C
	s_mov_b64 s[60:61], 0                                      // 000000006FDC: BEBC0180
	v_readlane_b32 s82, v3, 8                                  // 000000006FE0: D2890052 00011103
	s_and_b32 s82, s82, 0xffffff                               // 000000006FE8: 8652FF52 00FFFFFF
	s_cmp_lt_u32 s82, s66                                      // 000000006FF0: BF0A4252
	s_cselect_b32 s20, s36, s60                                // 000000006FF4: 85143C24
	v_readlane_b32 s82, v3, 9                                  // 000000006FF8: D2890052 00011303
	s_and_b32 s82, s82, 0xffffff                               // 000000007000: 8652FF52 00FFFFFF
	s_cmp_lt_u32 s82, s66                                      // 000000007008: BF0A4252
	s_cselect_b32 s21, s36, s60                                // 00000000700C: 85153C24
	s_mov_b64 exec, s[20:21]                                   // 000000007010: BEFE0114
	global_atomic_add_f32 v6, v134, s[8:9] offset:8            // 000000007014: DD348008 00088606
	global_atomic_add_f32 v6, v138, s[8:9] offset:264          // 00000000701C: DD348108 00088A06
	global_atomic_add_f32 v6, v142, s[8:9] offset:520          // 000000007024: DD348208 00088E06
	global_atomic_add_f32 v6, v146, s[8:9] offset:776          // 00000000702C: DD348308 00089206
	s_mov_b64 exec, s[36:37]                                   // 000000007034: BEFE0124
	v_mov_b32_e32 v6, v45                                      // 000000007038: 7E0C032D
	s_mov_b64 s[60:61], 0                                      // 00000000703C: BEBC0180
	v_readlane_b32 s82, v3, 10                                 // 000000007040: D2890052 00011503
	s_and_b32 s82, s82, 0xffffff                               // 000000007048: 8652FF52 00FFFFFF
	s_cmp_lt_u32 s82, s66                                      // 000000007050: BF0A4252
	s_cselect_b32 s20, s36, s60                                // 000000007054: 85143C24
	v_readlane_b32 s82, v3, 11                                 // 000000007058: D2890052 00011703
	s_and_b32 s82, s82, 0xffffff                               // 000000007060: 8652FF52 00FFFFFF
	s_cmp_lt_u32 s82, s66                                      // 000000007068: BF0A4252
	s_cselect_b32 s21, s36, s60                                // 00000000706C: 85153C24
	s_mov_b64 exec, s[20:21]                                   // 000000007070: BEFE0114
	global_atomic_add_f32 v6, v135, s[8:9] offset:8            // 000000007074: DD348008 00088706
	global_atomic_add_f32 v6, v139, s[8:9] offset:264          // 00000000707C: DD348108 00088B06
	global_atomic_add_f32 v6, v143, s[8:9] offset:520          // 000000007084: DD348208 00088F06
	global_atomic_add_f32 v6, v147, s[8:9] offset:776          // 00000000708C: DD348308 00089306
	s_mov_b64 exec, s[36:37]                                   // 000000007094: BEFE0124
	s_branch label_20F6                                        // 000000007098: BF820F4C

000000000000709c <label_11AA>:
	s_waitcnt vmcnt(6) lgkmcnt(0)                              // 00000000709C: BF8C0076
	s_barrier                                                  // 0000000070A0: BF8A0000
	v_mov_b32_e32 v37, v31                                     // 0000000070A4: 7E4A031F
	v_mov_b32_e32 v38, v32                                     // 0000000070A8: 7E4C0320
	v_mov_b32_e32 v39, v33                                     // 0000000070AC: 7E4E0321
	v_mul_f32_dpp v4, v24, v37 row_newbcast:0 row_mask:0xf bank_mask:0xf// 0000000070B0: 0A084AFA FF015018
	v_mfma_f32_16x16x32_fp8_fp8 v[8:11], a[48:49], a[0:1], 0   // 0000000070B8: D3F30008 1A020130
	buffer_load_dword v27, v23, s[32:35], 0 offen              // 0000000070C0: E0501000 80081B17
	buffer_load_dwordx4 a[80:83], v46, s[84:87], 0 offen       // 0000000070C8: E05C1000 8095502E
	v_mfma_f32_16x16x32_fp8_fp8 v[8:11], a[50:51], a[2:3], v[8:11]// 0000000070D0: D3F30008 1C220532
	v_mfma_f32_16x16x32_fp8_fp8 v[8:11], a[52:53], a[4:5], v[8:11]// 0000000070D8: D3F30008 1C220934
	v_mfma_f32_16x16x32_fp8_fp8 v[8:11], a[54:55], a[6:7], v[8:11]// 0000000070E0: D3F30008 1C220D36
	v_mul_f32_dpp v6, v24, v38 row_newbcast:0 row_mask:0xf bank_mask:0xf// 0000000070E8: 0A0C4CFA FF015018
	v_mfma_f32_16x16x32_fp8_fp8 v[12:15], a[48:49], a[8:9], 0  // 0000000070F0: D3F3000C 1A021130
	buffer_load_dwordx4 a[84:87], v46, s[84:87], 0 offen offset:1024// 0000000070F8: E05C1400 8095542E
	v_mfma_f32_16x16x32_fp8_fp8 v[12:15], a[50:51], a[10:11], v[12:15]// 000000007100: D3F3000C 1C321532
	v_mfma_f32_16x16x32_fp8_fp8 v[12:15], a[52:53], a[12:13], v[12:15]// 000000007108: D3F3000C 1C321934
	v_mfma_f32_16x16x32_fp8_fp8 v[12:15], a[54:55], a[14:15], v[12:15]// 000000007110: D3F3000C 1C321D36
	v_fma_f32 v52, v8, v4, v52                                 // 000000007118: D1CB0034 04D20908
	v_fma_f32 v53, v9, v4, v53                                 // 000000007120: D1CB0035 04D60909
	v_fma_f32 v54, v10, v4, v54                                // 000000007128: D1CB0036 04DA090A
	v_fma_f32 v55, v11, v4, v55                                // 000000007130: D1CB0037 04DE090B
	v_mul_f32_dpp v4, v24, v39 row_newbcast:0 row_mask:0xf bank_mask:0xf// 000000007138: 0A084EFA FF015018
	v_mfma_f32_16x16x32_fp8_fp8 v[8:11], a[48:49], a[16:17], 0 // 000000007140: D3F30008 1A022130
	buffer_load_dwordx4 a[88:91], v47, s[84:87], 0 offen       // 000000007148: E05C1000 8095582F
	v_mfma_f32_16x16x32_fp8_fp8 v[8:11], a[50:51], a[18:19], v[8:11]// 000000007150: D3F30008 1C222532
	v_mfma_f32_16x16x32_fp8_fp8 v[8:11], a[52:53], a[20:21], v[8:11]// 000000007158: D3F30008 1C222934
	v_mfma_f32_16x16x32_fp8_fp8 v[8:11], a[54:55], a[22:23], v[8:11]// 000000007160: D3F30008 1C222D36
	v_fma_f32 v56, v12, v6, v56                                // 000000007168: D1CB0038 04E20D0C
	v_fma_f32 v57, v13, v6, v57                                // 000000007170: D1CB0039 04E60D0D
	v_fma_f32 v58, v14, v6, v58                                // 000000007178: D1CB003A 04EA0D0E
	v_fma_f32 v59, v15, v6, v59                                // 000000007180: D1CB003B 04EE0D0F
	s_waitcnt vmcnt(8)                                         // 000000007188: BF8C0F78
	v_mul_f32_dpp v6, v24, v37 row_newbcast:0 row_mask:0xf bank_mask:0xf// 00000000718C: 0A0C4AFA FF015018
	v_mfma_f32_16x16x32_fp8_fp8 v[12:15], a[56:57], a[0:1], 0  // 000000007194: D3F3000C 1A020138
	buffer_load_dwordx4 a[92:95], v47, s[84:87], 0 offen offset:1024// 00000000719C: E05C1400 80955C2F
	v_mfma_f32_16x16x32_fp8_fp8 v[12:15], a[58:59], a[2:3], v[12:15]// 0000000071A4: D3F3000C 1C32053A
	v_mfma_f32_16x16x32_fp8_fp8 v[12:15], a[60:61], a[4:5], v[12:15]// 0000000071AC: D3F3000C 1C32093C
	v_mfma_f32_16x16x32_fp8_fp8 v[12:15], a[62:63], a[6:7], v[12:15]// 0000000071B4: D3F3000C 1C320D3E
	v_fma_f32 v60, v8, v4, v60                                 // 0000000071BC: D1CB003C 04F20908
	v_fma_f32 v61, v9, v4, v61                                 // 0000000071C4: D1CB003D 04F60909
	v_fma_f32 v62, v10, v4, v62                                // 0000000071CC: D1CB003E 04FA090A
	v_fma_f32 v63, v11, v4, v63                                // 0000000071D4: D1CB003F 04FE090B
	v_mul_f32_dpp v4, v24, v38 row_newbcast:0 row_mask:0xf bank_mask:0xf// 0000000071DC: 0A084CFA FF015018
	v_mfma_f32_16x16x32_fp8_fp8 v[8:11], a[56:57], a[8:9], 0   // 0000000071E4: D3F30008 1A021138
	buffer_load_dwordx4 a[96:99], v48, s[84:87], 0 offen       // 0000000071EC: E05C1000 80956030
	v_mfma_f32_16x16x32_fp8_fp8 v[8:11], a[58:59], a[10:11], v[8:11]// 0000000071F4: D3F30008 1C22153A
	v_mfma_f32_16x16x32_fp8_fp8 v[8:11], a[60:61], a[12:13], v[8:11]// 0000000071FC: D3F30008 1C22193C
	v_mfma_f32_16x16x32_fp8_fp8 v[8:11], a[62:63], a[14:15], v[8:11]// 000000007204: D3F30008 1C221D3E
	v_fma_f32 v64, v12, v6, v64                                // 00000000720C: D1CB0040 05020D0C
	v_fma_f32 v65, v13, v6, v65                                // 000000007214: D1CB0041 05060D0D
	v_fma_f32 v66, v14, v6, v66                                // 00000000721C: D1CB0042 050A0D0E
	v_fma_f32 v67, v15, v6, v67                                // 000000007224: D1CB0043 050E0D0F
	v_mul_f32_dpp v6, v24, v39 row_newbcast:0 row_mask:0xf bank_mask:0xf// 00000000722C: 0A0C4EFA FF015018
	v_mfma_f32_16x16x32_fp8_fp8 v[12:15], a[56:57], a[16:17], 0// 000000007234: D3F3000C 1A022138
	buffer_load_dwordx4 a[100:103], v48, s[84:87], 0 offen offset:1024// 00000000723C: E05C1400 80956430
	v_mfma_f32_16x16x32_fp8_fp8 v[12:15], a[58:59], a[18:19], v[12:15]// 000000007244: D3F3000C 1C32253A
	v_mfma_f32_16x16x32_fp8_fp8 v[12:15], a[60:61], a[20:21], v[12:15]// 00000000724C: D3F3000C 1C32293C
	v_mfma_f32_16x16x32_fp8_fp8 v[12:15], a[62:63], a[22:23], v[12:15]// 000000007254: D3F3000C 1C322D3E
	v_fma_f32 v68, v8, v4, v68                                 // 00000000725C: D1CB0044 05120908
	v_fma_f32 v69, v9, v4, v69                                 // 000000007264: D1CB0045 05160909
	v_fma_f32 v70, v10, v4, v70                                // 00000000726C: D1CB0046 051A090A
	v_fma_f32 v71, v11, v4, v71                                // 000000007274: D1CB0047 051E090B
	s_waitcnt vmcnt(9)                                         // 00000000727C: BF8C0F79
	v_mul_f32_dpp v4, v24, v37 row_newbcast:1 row_mask:0xf bank_mask:0xf// 000000007280: 0A084AFA FF015118
	v_mfma_f32_16x16x32_fp8_fp8 v[8:11], a[64:65], a[0:1], 0   // 000000007288: D3F30008 1A020140
	buffer_load_dwordx4 a[104:107], v49, s[84:87], 0 offen     // 000000007290: E05C1000 80956831
	v_mfma_f32_16x16x32_fp8_fp8 v[8:11], a[66:67], a[2:3], v[8:11]// 000000007298: D3F30008 1C220542
	v_mfma_f32_16x16x32_fp8_fp8 v[8:11], a[68:69], a[4:5], v[8:11]// 0000000072A0: D3F30008 1C220944
	v_mfma_f32_16x16x32_fp8_fp8 v[8:11], a[70:71], a[6:7], v[8:11]// 0000000072A8: D3F30008 1C220D46
	v_fma_f32 v72, v12, v6, v72                                // 0000000072B0: D1CB0048 05220D0C
	v_fma_f32 v73, v13, v6, v73                                // 0000000072B8: D1CB0049 05260D0D
	v_fma_f32 v74, v14, v6, v74                                // 0000000072C0: D1CB004A 052A0D0E
	v_fma_f32 v75, v15, v6, v75                                // 0000000072C8: D1CB004B 052E0D0F
	v_mul_f32_dpp v6, v24, v38 row_newbcast:1 row_mask:0xf bank_mask:0xf// 0000000072D0: 0A0C4CFA FF015118
	v_mfma_f32_16x16x32_fp8_fp8 v[12:15], a[64:65], a[8:9], 0  // 0000000072D8: D3F3000C 1A021140
	buffer_load_dwordx4 a[108:111], v49, s[84:87], 0 offen offset:1024// 0000000072E0: E05C1400 80956C31
	buffer_load_dword v40, s[20:23], 0 offen lds               // 0000000072E8: E0511000 80050028
	s_add_u32 m0, 0x100, s48                                   // 0000000072F0: 807C30FF 00000100
	v_mfma_f32_16x16x32_fp8_fp8 v[12:15], a[66:67], a[10:11], v[12:15]// 0000000072F8: D3F3000C 1C321542
	v_mfma_f32_16x16x32_fp8_fp8 v[12:15], a[68:69], a[12:13], v[12:15]// 000000007300: D3F3000C 1C321944
	buffer_load_dword v41, s[20:23], 0 offen lds               // 000000007308: E0511000 80050029
	s_add_u32 m0, 0x200, s48                                   // 000000007310: 807C30FF 00000200
	v_mfma_f32_16x16x32_fp8_fp8 v[12:15], a[70:71], a[14:15], v[12:15]// 000000007318: D3F3000C 1C321D46
	v_fma_f32 v76, v8, v4, v76                                 // 000000007320: D1CB004C 05320908
	v_fma_f32 v77, v9, v4, v77                                 // 000000007328: D1CB004D 05360909
	v_fma_f32 v78, v10, v4, v78                                // 000000007330: D1CB004E 053A090A
	v_fma_f32 v79, v11, v4, v79                                // 000000007338: D1CB004F 053E090B
	v_mul_f32_dpp v4, v24, v39 row_newbcast:1 row_mask:0xf bank_mask:0xf// 000000007340: 0A084EFA FF015118
	v_mfma_f32_16x16x32_fp8_fp8 v[8:11], a[64:65], a[16:17], 0 // 000000007348: D3F30008 1A022140
	buffer_load_dword v42, s[20:23], 0 offen lds               // 000000007350: E0511000 8005002A
	s_add_u32 m0, 0x300, s48                                   // 000000007358: 807C30FF 00000300
	v_mfma_f32_16x16x32_fp8_fp8 v[8:11], a[66:67], a[18:19], v[8:11]// 000000007360: D3F30008 1C222542
	v_mfma_f32_16x16x32_fp8_fp8 v[8:11], a[68:69], a[20:21], v[8:11]// 000000007368: D3F30008 1C222944
	buffer_load_dword v43, s[20:23], 0 offen lds               // 000000007370: E0511000 8005002B
	s_add_u32 m0, 0x400, s48                                   // 000000007378: 807C30FF 00000400
	v_mfma_f32_16x16x32_fp8_fp8 v[8:11], a[70:71], a[22:23], v[8:11]// 000000007380: D3F30008 1C222D46
	v_fma_f32 v80, v12, v6, v80                                // 000000007388: D1CB0050 05420D0C
	v_fma_f32 v81, v13, v6, v81                                // 000000007390: D1CB0051 05460D0D
	v_fma_f32 v82, v14, v6, v82                                // 000000007398: D1CB0052 054A0D0E
	v_fma_f32 v83, v15, v6, v83                                // 0000000073A0: D1CB0053 054E0D0F
	s_waitcnt vmcnt(13)                                        // 0000000073A8: BF8C0F7D
	v_mul_f32_dpp v6, v24, v37 row_newbcast:1 row_mask:0xf bank_mask:0xf// 0000000073AC: 0A0C4AFA FF015118
	v_mfma_f32_16x16x32_fp8_fp8 v[12:15], a[72:73], a[0:1], 0  // 0000000073B4: D3F3000C 1A020148
	buffer_load_dword v44, s[20:23], 0 offen lds               // 0000000073BC: E0511000 8005002C
	s_add_u32 m0, 0x500, s48                                   // 0000000073C4: 807C30FF 00000500
	v_mfma_f32_16x16x32_fp8_fp8 v[12:15], a[74:75], a[2:3], v[12:15]// 0000000073CC: D3F3000C 1C32054A
	v_mfma_f32_16x16x32_fp8_fp8 v[12:15], a[76:77], a[4:5], v[12:15]// 0000000073D4: D3F3000C 1C32094C
	buffer_load_dword v45, s[20:23], 0 offen lds               // 0000000073DC: E0511000 8005002D
	s_add_u32 m0, 0, s49                                       // 0000000073E4: 807C3180
	v_mfma_f32_16x16x32_fp8_fp8 v[12:15], a[78:79], a[6:7], v[12:15]// 0000000073E8: D3F3000C 1C320D4E
	v_fma_f32 v84, v8, v4, v84                                 // 0000000073F0: D1CB0054 05520908
	v_fma_f32 v85, v9, v4, v85                                 // 0000000073F8: D1CB0055 05560909
	v_fma_f32 v86, v10, v4, v86                                // 000000007400: D1CB0056 055A090A
	v_fma_f32 v87, v11, v4, v87                                // 000000007408: D1CB0057 055E090B
	v_mul_f32_dpp v4, v24, v38 row_newbcast:1 row_mask:0xf bank_mask:0xf// 000000007410: 0A084CFA FF015118
	v_mfma_f32_16x16x32_fp8_fp8 v[8:11], a[72:73], a[8:9], 0   // 000000007418: D3F30008 1A021148
	buffer_load_dword v31, v28, s[28:31], 0 offen              // 000000007420: E0501000 80071F1C
	v_mfma_f32_16x16x32_fp8_fp8 v[8:11], a[74:75], a[10:11], v[8:11]// 000000007428: D3F30008 1C22154A
	v_mfma_f32_16x16x32_fp8_fp8 v[8:11], a[76:77], a[12:13], v[8:11]// 000000007430: D3F30008 1C22194C
	buffer_load_dword v32, v29, s[28:31], 0 offen              // 000000007438: E0501000 8007201D
	v_mfma_f32_16x16x32_fp8_fp8 v[8:11], a[78:79], a[14:15], v[8:11]// 000000007440: D3F30008 1C221D4E
	v_fma_f32 v88, v12, v6, v88                                // 000000007448: D1CB0058 05620D0C
	v_fma_f32 v89, v13, v6, v89                                // 000000007450: D1CB0059 05660D0D
	v_fma_f32 v90, v14, v6, v90                                // 000000007458: D1CB005A 056A0D0E
	v_fma_f32 v91, v15, v6, v91                                // 000000007460: D1CB005B 056E0D0F
	v_mul_f32_dpp v6, v24, v39 row_newbcast:1 row_mask:0xf bank_mask:0xf// 000000007468: 0A0C4EFA FF015118
	v_mfma_f32_16x16x32_fp8_fp8 v[12:15], a[72:73], a[16:17], 0// 000000007470: D3F3000C 1A022148
	buffer_load_dword v33, v30, s[28:31], 0 offen              // 000000007478: E0501000 8007211E
	v_mfma_f32_16x16x32_fp8_fp8 v[12:15], a[74:75], a[18:19], v[12:15]// 000000007480: D3F3000C 1C32254A
	s_add_u32 s60, 0x80, s80                                   // 000000007488: 803C50FF 00000080
	s_cmp_lt_u32 s60, s81                                      // 000000007490: BF0A513C
	s_cselect_b32 s83, s83, 0                                  // 000000007494: 85538053
	s_cselect_b32 s4, s4, 0                                    // 000000007498: 85048004
	v_mfma_f32_16x16x32_fp8_fp8 v[12:15], a[76:77], a[20:21], v[12:15]// 00000000749C: D3F3000C 1C32294C
	s_add_u32 s32, s4, s32                                     // 0000000074A4: 80202004
	s_addc_u32 s33, 0, s33                                     // 0000000074A8: 82212180
	v_mfma_f32_16x16x32_fp8_fp8 v[12:15], a[78:79], a[22:23], v[12:15]// 0000000074AC: D3F3000C 1C322D4E
	v_fma_f32 v92, v8, v4, v92                                 // 0000000074B4: D1CB005C 05720908
	v_fma_f32 v93, v9, v4, v93                                 // 0000000074BC: D1CB005D 05760909
	v_fma_f32 v94, v10, v4, v94                                // 0000000074C4: D1CB005E 057A090A
	v_fma_f32 v95, v11, v4, v95                                // 0000000074CC: D1CB005F 057E090B
	v_fma_f32 v96, v12, v6, v96                                // 0000000074D4: D1CB0060 05820D0C
	v_fma_f32 v97, v13, v6, v97                                // 0000000074DC: D1CB0061 05860D0D
	v_fma_f32 v98, v14, v6, v98                                // 0000000074E4: D1CB0062 058A0D0E
	v_fma_f32 v99, v15, v6, v99                                // 0000000074EC: D1CB0063 058E0D0F
	s_waitcnt vmcnt(9)                                         // 0000000074F4: BF8C0F79
	v_mul_f32_dpp v4, v27, v37 row_newbcast:0 row_mask:0xf bank_mask:0xf// 0000000074F8: 0A084AFA FF01501B
	v_mfma_f32_16x16x32_fp8_fp8 v[8:11], a[80:81], a[0:1], 0   // 000000007500: D3F30008 1A020150
	buffer_load_dword v24, v22, s[32:35], 0 offen              // 000000007508: E0501000 80081816
	buffer_load_dwordx4 a[48:51], v46, s[24:27], 0 offen       // 000000007510: E05C1000 8086302E
	v_mfma_f32_16x16x32_fp8_fp8 v[8:11], a[82:83], a[2:3], v[8:11]// 000000007518: D3F30008 1C220552
	v_mfma_f32_16x16x32_fp8_fp8 v[8:11], a[84:85], a[4:5], v[8:11]// 000000007520: D3F30008 1C220954
	ds_read_b128 a[24:27], v2 offset:6272                      // 000000007528: DBFE1880 18000002
	ds_read_b128 a[28:31], v2 offset:6336                      // 000000007530: DBFE18C0 1C000002
	v_mfma_f32_16x16x32_fp8_fp8 v[8:11], a[86:87], a[6:7], v[8:11]// 000000007538: D3F30008 1C220D56
	v_mfma_f32_16x16x32_fp8_fp8 v[12:15], a[88:89], a[0:1], 0  // 000000007540: D3F3000C 1A020158
	buffer_load_dwordx4 a[52:55], v46, s[24:27], 0 offen offset:1024// 000000007548: E05C1400 8086342E
	v_mfma_f32_16x16x32_fp8_fp8 v[12:15], a[90:91], a[2:3], v[12:15]// 000000007550: D3F3000C 1C32055A
	v_mfma_f32_16x16x32_fp8_fp8 v[12:15], a[92:93], a[4:5], v[12:15]// 000000007558: D3F3000C 1C32095C
	ds_read_b128 a[32:35], v2 offset:6784                      // 000000007560: DBFE1A80 20000002
	ds_read_b128 a[36:39], v2 offset:6848                      // 000000007568: DBFE1AC0 24000002
	v_mfma_f32_16x16x32_fp8_fp8 v[12:15], a[94:95], a[6:7], v[12:15]// 000000007570: D3F3000C 1C320D5E
	v_fma_f32 v100, v8, v4, v100                               // 000000007578: D1CB0064 05920908
	v_fma_f32 v101, v9, v4, v101                               // 000000007580: D1CB0065 05960909
	v_fma_f32 v102, v10, v4, v102                              // 000000007588: D1CB0066 059A090A
	v_fma_f32 v103, v11, v4, v103                              // 000000007590: D1CB0067 059E090B
	v_mul_f32_dpp v6, v27, v37 row_newbcast:1 row_mask:0xf bank_mask:0xf// 000000007598: 0A0C4AFA FF01511B
	v_mfma_f32_16x16x32_fp8_fp8 v[8:11], a[96:97], a[0:1], 0   // 0000000075A0: D3F30008 1A020160
	buffer_load_dwordx4 a[56:59], v47, s[24:27], 0 offen       // 0000000075A8: E05C1000 8086382F
	v_mfma_f32_16x16x32_fp8_fp8 v[8:11], a[98:99], a[2:3], v[8:11]// 0000000075B0: D3F30008 1C220562
	v_mfma_f32_16x16x32_fp8_fp8 v[8:11], a[100:101], a[4:5], v[8:11]// 0000000075B8: D3F30008 1C220964
	ds_read_b128 a[40:43], v2 offset:7296                      // 0000000075C0: DBFE1C80 28000002
	ds_read_b128 a[44:47], v2 offset:7360                      // 0000000075C8: DBFE1CC0 2C000002
	v_mfma_f32_16x16x32_fp8_fp8 v[8:11], a[102:103], a[6:7], v[8:11]// 0000000075D0: D3F30008 1C220D66
	v_fma_f32 v112, v12, v4, v112                              // 0000000075D8: D1CB0070 05C2090C
	v_fma_f32 v113, v13, v4, v113                              // 0000000075E0: D1CB0071 05C6090D
	v_fma_f32 v114, v14, v4, v114                              // 0000000075E8: D1CB0072 05CA090E
	v_fma_f32 v115, v15, v4, v115                              // 0000000075F0: D1CB0073 05CE090F
	v_mfma_f32_16x16x32_fp8_fp8 v[12:15], a[104:105], a[0:1], 0// 0000000075F8: D3F3000C 1A020168
	buffer_load_dwordx4 a[60:63], v47, s[24:27], 0 offen offset:1024// 000000007600: E05C1400 80863C2F
	v_mfma_f32_16x16x32_fp8_fp8 v[12:15], a[106:107], a[2:3], v[12:15]// 000000007608: D3F3000C 1C32056A
	v_mfma_f32_16x16x32_fp8_fp8 v[12:15], a[108:109], a[4:5], v[12:15]// 000000007610: D3F3000C 1C32096C
	v_mfma_f32_16x16x32_fp8_fp8 v[12:15], a[110:111], a[6:7], v[12:15]// 000000007618: D3F3000C 1C320D6E
	v_fma_f32 v124, v8, v6, v124                               // 000000007620: D1CB007C 05F20D08
	v_fma_f32 v125, v9, v6, v125                               // 000000007628: D1CB007D 05F60D09
	v_fma_f32 v126, v10, v6, v126                              // 000000007630: D1CB007E 05FA0D0A
	v_fma_f32 v127, v11, v6, v127                              // 000000007638: D1CB007F 05FE0D0B
	v_mul_f32_dpp v4, v27, v38 row_newbcast:0 row_mask:0xf bank_mask:0xf// 000000007640: 0A084CFA FF01501B
	v_mfma_f32_16x16x32_fp8_fp8 v[8:11], a[80:81], a[8:9], 0   // 000000007648: D3F30008 1A021150
	buffer_load_dwordx4 a[64:67], v48, s[24:27], 0 offen       // 000000007650: E05C1000 80864030
	v_mfma_f32_16x16x32_fp8_fp8 v[8:11], a[82:83], a[10:11], v[8:11]// 000000007658: D3F30008 1C221552
	v_mfma_f32_16x16x32_fp8_fp8 v[8:11], a[84:85], a[12:13], v[8:11]// 000000007660: D3F30008 1C221954
	v_mfma_f32_16x16x32_fp8_fp8 v[8:11], a[86:87], a[14:15], v[8:11]// 000000007668: D3F30008 1C221D56
	v_fma_f32 v136, v12, v6, v136                              // 000000007670: D1CB0088 06220D0C
	v_fma_f32 v137, v13, v6, v137                              // 000000007678: D1CB0089 06260D0D
	v_fma_f32 v138, v14, v6, v138                              // 000000007680: D1CB008A 062A0D0E
	v_fma_f32 v139, v15, v6, v139                              // 000000007688: D1CB008B 062E0D0F
	v_mfma_f32_16x16x32_fp8_fp8 v[12:15], a[88:89], a[8:9], 0  // 000000007690: D3F3000C 1A021158
	buffer_load_dwordx4 a[68:71], v48, s[24:27], 0 offen offset:1024// 000000007698: E05C1400 80864430
	v_mfma_f32_16x16x32_fp8_fp8 v[12:15], a[90:91], a[10:11], v[12:15]// 0000000076A0: D3F3000C 1C32155A
	v_mfma_f32_16x16x32_fp8_fp8 v[12:15], a[92:93], a[12:13], v[12:15]// 0000000076A8: D3F3000C 1C32195C
	v_mfma_f32_16x16x32_fp8_fp8 v[12:15], a[94:95], a[14:15], v[12:15]// 0000000076B0: D3F3000C 1C321D5E
	v_fma_f32 v104, v8, v4, v104                               // 0000000076B8: D1CB0068 05A20908
	v_fma_f32 v105, v9, v4, v105                               // 0000000076C0: D1CB0069 05A60909
	v_fma_f32 v106, v10, v4, v106                              // 0000000076C8: D1CB006A 05AA090A
	v_fma_f32 v107, v11, v4, v107                              // 0000000076D0: D1CB006B 05AE090B
	v_mul_f32_dpp v6, v27, v38 row_newbcast:1 row_mask:0xf bank_mask:0xf// 0000000076D8: 0A0C4CFA FF01511B
	v_mfma_f32_16x16x32_fp8_fp8 v[8:11], a[96:97], a[8:9], 0   // 0000000076E0: D3F30008 1A021160
	buffer_load_dwordx4 a[72:75], v49, s[24:27], 0 offen       // 0000000076E8: E05C1000 80864831
	v_mfma_f32_16x16x32_fp8_fp8 v[8:11], a[98:99], a[10:11], v[8:11]// 0000000076F0: D3F30008 1C221562
	v_mfma_f32_16x16x32_fp8_fp8 v[8:11], a[100:101], a[12:13], v[8:11]// 0000000076F8: D3F30008 1C221964
	v_mfma_f32_16x16x32_fp8_fp8 v[8:11], a[102:103], a[14:15], v[8:11]// 000000007700: D3F30008 1C221D66
	v_fma_f32 v116, v12, v4, v116                              // 000000007708: D1CB0074 05D2090C
	v_fma_f32 v117, v13, v4, v117                              // 000000007710: D1CB0075 05D6090D
	v_fma_f32 v118, v14, v4, v118                              // 000000007718: D1CB0076 05DA090E
	v_fma_f32 v119, v15, v4, v119                              // 000000007720: D1CB0077 05DE090F
	v_mfma_f32_16x16x32_fp8_fp8 v[12:15], a[104:105], a[8:9], 0// 000000007728: D3F3000C 1A021168
	buffer_load_dwordx4 a[76:79], v49, s[24:27], 0 offen offset:1024// 000000007730: E05C1400 80864C31
	v_mfma_f32_16x16x32_fp8_fp8 v[12:15], a[106:107], a[10:11], v[12:15]// 000000007738: D3F3000C 1C32156A
	v_mfma_f32_16x16x32_fp8_fp8 v[12:15], a[108:109], a[12:13], v[12:15]// 000000007740: D3F3000C 1C32196C
	v_mfma_f32_16x16x32_fp8_fp8 v[12:15], a[110:111], a[14:15], v[12:15]// 000000007748: D3F3000C 1C321D6E
	v_fma_f32 v128, v8, v6, v128                               // 000000007750: D1CB0080 06020D08
	v_fma_f32 v129, v9, v6, v129                               // 000000007758: D1CB0081 06060D09
	v_fma_f32 v130, v10, v6, v130                              // 000000007760: D1CB0082 060A0D0A
	v_fma_f32 v131, v11, v6, v131                              // 000000007768: D1CB0083 060E0D0B
	v_mul_f32_dpp v4, v27, v39 row_newbcast:0 row_mask:0xf bank_mask:0xf// 000000007770: 0A084EFA FF01501B
	v_mfma_f32_16x16x32_fp8_fp8 v[8:11], a[80:81], a[16:17], 0 // 000000007778: D3F30008 1A022150
	v_mfma_f32_16x16x32_fp8_fp8 v[8:11], a[82:83], a[18:19], v[8:11]// 000000007780: D3F30008 1C222552
	v_mfma_f32_16x16x32_fp8_fp8 v[8:11], a[84:85], a[20:21], v[8:11]// 000000007788: D3F30008 1C222954
	v_mfma_f32_16x16x32_fp8_fp8 v[8:11], a[86:87], a[22:23], v[8:11]// 000000007790: D3F30008 1C222D56
	v_fma_f32 v140, v12, v6, v140                              // 000000007798: D1CB008C 06320D0C
	v_fma_f32 v141, v13, v6, v141                              // 0000000077A0: D1CB008D 06360D0D
	v_fma_f32 v142, v14, v6, v142                              // 0000000077A8: D1CB008E 063A0D0E
	v_fma_f32 v143, v15, v6, v143                              // 0000000077B0: D1CB008F 063E0D0F
	v_mfma_f32_16x16x32_fp8_fp8 v[12:15], a[88:89], a[16:17], 0// 0000000077B8: D3F3000C 1A022158
	v_mfma_f32_16x16x32_fp8_fp8 v[12:15], a[90:91], a[18:19], v[12:15]// 0000000077C0: D3F3000C 1C32255A
	v_mfma_f32_16x16x32_fp8_fp8 v[12:15], a[92:93], a[20:21], v[12:15]// 0000000077C8: D3F3000C 1C32295C
	v_mfma_f32_16x16x32_fp8_fp8 v[12:15], a[94:95], a[22:23], v[12:15]// 0000000077D0: D3F3000C 1C322D5E
	v_fma_f32 v108, v8, v4, v108                               // 0000000077D8: D1CB006C 05B20908
	v_fma_f32 v109, v9, v4, v109                               // 0000000077E0: D1CB006D 05B60909
	v_fma_f32 v110, v10, v4, v110                              // 0000000077E8: D1CB006E 05BA090A
	v_fma_f32 v111, v11, v4, v111                              // 0000000077F0: D1CB006F 05BE090B
	v_mul_f32_dpp v6, v27, v39 row_newbcast:1 row_mask:0xf bank_mask:0xf// 0000000077F8: 0A0C4EFA FF01511B
	v_mfma_f32_16x16x32_fp8_fp8 v[8:11], a[96:97], a[16:17], 0 // 000000007800: D3F30008 1A022160
	v_mfma_f32_16x16x32_fp8_fp8 v[8:11], a[98:99], a[18:19], v[8:11]// 000000007808: D3F30008 1C222562
	v_mfma_f32_16x16x32_fp8_fp8 v[8:11], a[100:101], a[20:21], v[8:11]// 000000007810: D3F30008 1C222964
	s_add_u32 s60, 0x180, s80                                  // 000000007818: 803C50FF 00000180
	s_cmp_lt_u32 s60, s81                                      // 000000007820: BF0A513C
	s_cselect_b32 s57, s57, 0                                  // 000000007824: 85398039
	s_cselect_b32 s3, s3, 0                                    // 000000007828: 85038003
	v_mfma_f32_16x16x32_fp8_fp8 v[8:11], a[102:103], a[22:23], v[8:11]// 00000000782C: D3F30008 1C222D66
	s_add_u32 s60, 0x100, s80                                  // 000000007834: 803C50FF 00000100
	s_cmp_lt_u32 s60, s81                                      // 00000000783C: BF0A513C
	s_cselect_b32 s58, s58, 0                                  // 000000007840: 853A803A
	v_fma_f32 v120, v12, v4, v120                              // 000000007844: D1CB0078 05E2090C
	v_fma_f32 v121, v13, v4, v121                              // 00000000784C: D1CB0079 05E6090D
	v_fma_f32 v122, v14, v4, v122                              // 000000007854: D1CB007A 05EA090E
	v_fma_f32 v123, v15, v4, v123                              // 00000000785C: D1CB007B 05EE090F
	v_mfma_f32_16x16x32_fp8_fp8 v[12:15], a[104:105], a[16:17], 0// 000000007864: D3F3000C 1A022168
	s_add_u32 s24, s58, s24                                    // 00000000786C: 8018183A
	s_addc_u32 s25, 0, s25                                     // 000000007870: 82191980
	v_mfma_f32_16x16x32_fp8_fp8 v[12:15], a[106:107], a[18:19], v[12:15]// 000000007874: D3F3000C 1C32256A
	s_add_u32 s20, s57, s20                                    // 00000000787C: 80141439
	s_addc_u32 s21, 0, s21                                     // 000000007880: 82151580
	s_add_u32 s28, s3, s28                                     // 000000007884: 801C1C03
	s_addc_u32 s29, 0, s29                                     // 000000007888: 821D1D80
	v_mfma_f32_16x16x32_fp8_fp8 v[12:15], a[108:109], a[20:21], v[12:15]// 00000000788C: D3F3000C 1C32296C
	s_add_u32 s84, s83, s84                                    // 000000007894: 80545453
	s_addc_u32 s85, 0, s85                                     // 000000007898: 82555580
	v_mfma_f32_16x16x32_fp8_fp8 v[12:15], a[110:111], a[22:23], v[12:15]// 00000000789C: D3F3000C 1C322D6E
	v_fma_f32 v132, v8, v6, v132                               // 0000000078A4: D1CB0084 06120D08
	v_fma_f32 v133, v9, v6, v133                               // 0000000078AC: D1CB0085 06160D09
	v_fma_f32 v134, v10, v6, v134                              // 0000000078B4: D1CB0086 061A0D0A
	v_fma_f32 v135, v11, v6, v135                              // 0000000078BC: D1CB0087 061E0D0B
	v_fma_f32 v144, v12, v6, v144                              // 0000000078C4: D1CB0090 06420D0C
	v_fma_f32 v145, v13, v6, v145                              // 0000000078CC: D1CB0091 06460D0D
	v_fma_f32 v146, v14, v6, v146                              // 0000000078D4: D1CB0092 064A0D0E
	v_fma_f32 v147, v15, v6, v147                              // 0000000078DC: D1CB0093 064E0D0F
	s_addk_i32 s80, 0x80                                       // 0000000078E4: B7500080
	s_cmp_lt_i32 s80, s81                                      // 0000000078E8: BF045150
	s_cbranch_scc0 label_15D5                                  // 0000000078EC: BF840216
	s_waitcnt vmcnt(6) lgkmcnt(0)                              // 0000000078F0: BF8C0076
	s_barrier                                                  // 0000000078F4: BF8A0000
	v_mov_b32_e32 v37, v34                                     // 0000000078F8: 7E4A0322
	v_mov_b32_e32 v38, v35                                     // 0000000078FC: 7E4C0323
	v_mov_b32_e32 v39, v36                                     // 000000007900: 7E4E0324
	v_mul_f32_dpp v4, v24, v37 row_newbcast:0 row_mask:0xf bank_mask:0xf// 000000007904: 0A084AFA FF015018
	v_mfma_f32_16x16x32_fp8_fp8 v[8:11], a[48:49], a[24:25], 0 // 00000000790C: D3F30008 1A023130
	buffer_load_dword v27, v23, s[32:35], 0 offen              // 000000007914: E0501000 80081B17
	buffer_load_dwordx4 a[80:83], v46, s[84:87], 0 offen       // 00000000791C: E05C1000 8095502E
	v_mfma_f32_16x16x32_fp8_fp8 v[8:11], a[50:51], a[26:27], v[8:11]// 000000007924: D3F30008 1C223532
	v_mfma_f32_16x16x32_fp8_fp8 v[8:11], a[52:53], a[28:29], v[8:11]// 00000000792C: D3F30008 1C223934
	v_mfma_f32_16x16x32_fp8_fp8 v[8:11], a[54:55], a[30:31], v[8:11]// 000000007934: D3F30008 1C223D36
	v_mul_f32_dpp v6, v24, v38 row_newbcast:0 row_mask:0xf bank_mask:0xf// 00000000793C: 0A0C4CFA FF015018
	v_mfma_f32_16x16x32_fp8_fp8 v[12:15], a[48:49], a[32:33], 0// 000000007944: D3F3000C 1A024130
	buffer_load_dwordx4 a[84:87], v46, s[84:87], 0 offen offset:1024// 00000000794C: E05C1400 8095542E
	v_mfma_f32_16x16x32_fp8_fp8 v[12:15], a[50:51], a[34:35], v[12:15]// 000000007954: D3F3000C 1C324532
	v_mfma_f32_16x16x32_fp8_fp8 v[12:15], a[52:53], a[36:37], v[12:15]// 00000000795C: D3F3000C 1C324934
	v_mfma_f32_16x16x32_fp8_fp8 v[12:15], a[54:55], a[38:39], v[12:15]// 000000007964: D3F3000C 1C324D36
	v_fma_f32 v52, v8, v4, v52                                 // 00000000796C: D1CB0034 04D20908
	v_fma_f32 v53, v9, v4, v53                                 // 000000007974: D1CB0035 04D60909
	v_fma_f32 v54, v10, v4, v54                                // 00000000797C: D1CB0036 04DA090A
	v_fma_f32 v55, v11, v4, v55                                // 000000007984: D1CB0037 04DE090B
	v_mul_f32_dpp v4, v24, v39 row_newbcast:0 row_mask:0xf bank_mask:0xf// 00000000798C: 0A084EFA FF015018
	v_mfma_f32_16x16x32_fp8_fp8 v[8:11], a[48:49], a[40:41], 0 // 000000007994: D3F30008 1A025130
	buffer_load_dwordx4 a[88:91], v47, s[84:87], 0 offen       // 00000000799C: E05C1000 8095582F
	v_mfma_f32_16x16x32_fp8_fp8 v[8:11], a[50:51], a[42:43], v[8:11]// 0000000079A4: D3F30008 1C225532
	v_mfma_f32_16x16x32_fp8_fp8 v[8:11], a[52:53], a[44:45], v[8:11]// 0000000079AC: D3F30008 1C225934
	v_mfma_f32_16x16x32_fp8_fp8 v[8:11], a[54:55], a[46:47], v[8:11]// 0000000079B4: D3F30008 1C225D36
	v_fma_f32 v56, v12, v6, v56                                // 0000000079BC: D1CB0038 04E20D0C
	v_fma_f32 v57, v13, v6, v57                                // 0000000079C4: D1CB0039 04E60D0D
	v_fma_f32 v58, v14, v6, v58                                // 0000000079CC: D1CB003A 04EA0D0E
	v_fma_f32 v59, v15, v6, v59                                // 0000000079D4: D1CB003B 04EE0D0F
	s_waitcnt vmcnt(8)                                         // 0000000079DC: BF8C0F78
	v_mul_f32_dpp v6, v24, v37 row_newbcast:0 row_mask:0xf bank_mask:0xf// 0000000079E0: 0A0C4AFA FF015018
	v_mfma_f32_16x16x32_fp8_fp8 v[12:15], a[56:57], a[24:25], 0// 0000000079E8: D3F3000C 1A023138
	buffer_load_dwordx4 a[92:95], v47, s[84:87], 0 offen offset:1024// 0000000079F0: E05C1400 80955C2F
	v_mfma_f32_16x16x32_fp8_fp8 v[12:15], a[58:59], a[26:27], v[12:15]// 0000000079F8: D3F3000C 1C32353A
	v_mfma_f32_16x16x32_fp8_fp8 v[12:15], a[60:61], a[28:29], v[12:15]// 000000007A00: D3F3000C 1C32393C
	v_mfma_f32_16x16x32_fp8_fp8 v[12:15], a[62:63], a[30:31], v[12:15]// 000000007A08: D3F3000C 1C323D3E
	v_fma_f32 v60, v8, v4, v60                                 // 000000007A10: D1CB003C 04F20908
	v_fma_f32 v61, v9, v4, v61                                 // 000000007A18: D1CB003D 04F60909
	v_fma_f32 v62, v10, v4, v62                                // 000000007A20: D1CB003E 04FA090A
	v_fma_f32 v63, v11, v4, v63                                // 000000007A28: D1CB003F 04FE090B
	v_mul_f32_dpp v4, v24, v38 row_newbcast:0 row_mask:0xf bank_mask:0xf// 000000007A30: 0A084CFA FF015018
	v_mfma_f32_16x16x32_fp8_fp8 v[8:11], a[56:57], a[32:33], 0 // 000000007A38: D3F30008 1A024138
	buffer_load_dwordx4 a[96:99], v48, s[84:87], 0 offen       // 000000007A40: E05C1000 80956030
	v_mfma_f32_16x16x32_fp8_fp8 v[8:11], a[58:59], a[34:35], v[8:11]// 000000007A48: D3F30008 1C22453A
	v_mfma_f32_16x16x32_fp8_fp8 v[8:11], a[60:61], a[36:37], v[8:11]// 000000007A50: D3F30008 1C22493C
	v_mfma_f32_16x16x32_fp8_fp8 v[8:11], a[62:63], a[38:39], v[8:11]// 000000007A58: D3F30008 1C224D3E
	v_fma_f32 v64, v12, v6, v64                                // 000000007A60: D1CB0040 05020D0C
	v_fma_f32 v65, v13, v6, v65                                // 000000007A68: D1CB0041 05060D0D
	v_fma_f32 v66, v14, v6, v66                                // 000000007A70: D1CB0042 050A0D0E
	v_fma_f32 v67, v15, v6, v67                                // 000000007A78: D1CB0043 050E0D0F
	v_mul_f32_dpp v6, v24, v39 row_newbcast:0 row_mask:0xf bank_mask:0xf// 000000007A80: 0A0C4EFA FF015018
	v_mfma_f32_16x16x32_fp8_fp8 v[12:15], a[56:57], a[40:41], 0// 000000007A88: D3F3000C 1A025138
	buffer_load_dwordx4 a[100:103], v48, s[84:87], 0 offen offset:1024// 000000007A90: E05C1400 80956430
	v_mfma_f32_16x16x32_fp8_fp8 v[12:15], a[58:59], a[42:43], v[12:15]// 000000007A98: D3F3000C 1C32553A
	v_mfma_f32_16x16x32_fp8_fp8 v[12:15], a[60:61], a[44:45], v[12:15]// 000000007AA0: D3F3000C 1C32593C
	v_mfma_f32_16x16x32_fp8_fp8 v[12:15], a[62:63], a[46:47], v[12:15]// 000000007AA8: D3F3000C 1C325D3E
	v_fma_f32 v68, v8, v4, v68                                 // 000000007AB0: D1CB0044 05120908
	v_fma_f32 v69, v9, v4, v69                                 // 000000007AB8: D1CB0045 05160909
	v_fma_f32 v70, v10, v4, v70                                // 000000007AC0: D1CB0046 051A090A
	v_fma_f32 v71, v11, v4, v71                                // 000000007AC8: D1CB0047 051E090B
	s_waitcnt vmcnt(9)                                         // 000000007AD0: BF8C0F79
	v_mul_f32_dpp v4, v24, v37 row_newbcast:1 row_mask:0xf bank_mask:0xf// 000000007AD4: 0A084AFA FF015118
	v_mfma_f32_16x16x32_fp8_fp8 v[8:11], a[64:65], a[24:25], 0 // 000000007ADC: D3F30008 1A023140
	buffer_load_dwordx4 a[104:107], v49, s[84:87], 0 offen     // 000000007AE4: E05C1000 80956831
	v_mfma_f32_16x16x32_fp8_fp8 v[8:11], a[66:67], a[26:27], v[8:11]// 000000007AEC: D3F30008 1C223542
	v_mfma_f32_16x16x32_fp8_fp8 v[8:11], a[68:69], a[28:29], v[8:11]// 000000007AF4: D3F30008 1C223944
	v_mfma_f32_16x16x32_fp8_fp8 v[8:11], a[70:71], a[30:31], v[8:11]// 000000007AFC: D3F30008 1C223D46
	v_fma_f32 v72, v12, v6, v72                                // 000000007B04: D1CB0048 05220D0C
	v_fma_f32 v73, v13, v6, v73                                // 000000007B0C: D1CB0049 05260D0D
	v_fma_f32 v74, v14, v6, v74                                // 000000007B14: D1CB004A 052A0D0E
	v_fma_f32 v75, v15, v6, v75                                // 000000007B1C: D1CB004B 052E0D0F
	v_mul_f32_dpp v6, v24, v38 row_newbcast:1 row_mask:0xf bank_mask:0xf// 000000007B24: 0A0C4CFA FF015118
	v_mfma_f32_16x16x32_fp8_fp8 v[12:15], a[64:65], a[32:33], 0// 000000007B2C: D3F3000C 1A024140
	buffer_load_dwordx4 a[108:111], v49, s[84:87], 0 offen offset:1024// 000000007B34: E05C1400 80956C31
	buffer_load_dword v40, s[20:23], 0 offen lds               // 000000007B3C: E0511000 80050028
	s_add_u32 m0, 0x100, s49                                   // 000000007B44: 807C31FF 00000100
	v_mfma_f32_16x16x32_fp8_fp8 v[12:15], a[66:67], a[34:35], v[12:15]// 000000007B4C: D3F3000C 1C324542
	v_mfma_f32_16x16x32_fp8_fp8 v[12:15], a[68:69], a[36:37], v[12:15]// 000000007B54: D3F3000C 1C324944
	buffer_load_dword v41, s[20:23], 0 offen lds               // 000000007B5C: E0511000 80050029
	s_add_u32 m0, 0x200, s49                                   // 000000007B64: 807C31FF 00000200
	v_mfma_f32_16x16x32_fp8_fp8 v[12:15], a[70:71], a[38:39], v[12:15]// 000000007B6C: D3F3000C 1C324D46
	v_fma_f32 v76, v8, v4, v76                                 // 000000007B74: D1CB004C 05320908
	v_fma_f32 v77, v9, v4, v77                                 // 000000007B7C: D1CB004D 05360909
	v_fma_f32 v78, v10, v4, v78                                // 000000007B84: D1CB004E 053A090A
	v_fma_f32 v79, v11, v4, v79                                // 000000007B8C: D1CB004F 053E090B
	v_mul_f32_dpp v4, v24, v39 row_newbcast:1 row_mask:0xf bank_mask:0xf// 000000007B94: 0A084EFA FF015118
	v_mfma_f32_16x16x32_fp8_fp8 v[8:11], a[64:65], a[40:41], 0 // 000000007B9C: D3F30008 1A025140
	buffer_load_dword v42, s[20:23], 0 offen lds               // 000000007BA4: E0511000 8005002A
	s_add_u32 m0, 0x300, s49                                   // 000000007BAC: 807C31FF 00000300
	v_mfma_f32_16x16x32_fp8_fp8 v[8:11], a[66:67], a[42:43], v[8:11]// 000000007BB4: D3F30008 1C225542
	v_mfma_f32_16x16x32_fp8_fp8 v[8:11], a[68:69], a[44:45], v[8:11]// 000000007BBC: D3F30008 1C225944
	buffer_load_dword v43, s[20:23], 0 offen lds               // 000000007BC4: E0511000 8005002B
	s_add_u32 m0, 0x400, s49                                   // 000000007BCC: 807C31FF 00000400
	v_mfma_f32_16x16x32_fp8_fp8 v[8:11], a[70:71], a[46:47], v[8:11]// 000000007BD4: D3F30008 1C225D46
	v_fma_f32 v80, v12, v6, v80                                // 000000007BDC: D1CB0050 05420D0C
	v_fma_f32 v81, v13, v6, v81                                // 000000007BE4: D1CB0051 05460D0D
	v_fma_f32 v82, v14, v6, v82                                // 000000007BEC: D1CB0052 054A0D0E
	v_fma_f32 v83, v15, v6, v83                                // 000000007BF4: D1CB0053 054E0D0F
	s_waitcnt vmcnt(13)                                        // 000000007BFC: BF8C0F7D
	v_mul_f32_dpp v6, v24, v37 row_newbcast:1 row_mask:0xf bank_mask:0xf// 000000007C00: 0A0C4AFA FF015118
	v_mfma_f32_16x16x32_fp8_fp8 v[12:15], a[72:73], a[24:25], 0// 000000007C08: D3F3000C 1A023148
	buffer_load_dword v44, s[20:23], 0 offen lds               // 000000007C10: E0511000 8005002C
	s_add_u32 m0, 0x500, s49                                   // 000000007C18: 807C31FF 00000500
	v_mfma_f32_16x16x32_fp8_fp8 v[12:15], a[74:75], a[26:27], v[12:15]// 000000007C20: D3F3000C 1C32354A
	v_mfma_f32_16x16x32_fp8_fp8 v[12:15], a[76:77], a[28:29], v[12:15]// 000000007C28: D3F3000C 1C32394C
	buffer_load_dword v45, s[20:23], 0 offen lds               // 000000007C30: E0511000 8005002D
	s_add_u32 m0, 0, s48                                       // 000000007C38: 807C3080
	v_mfma_f32_16x16x32_fp8_fp8 v[12:15], a[78:79], a[30:31], v[12:15]// 000000007C3C: D3F3000C 1C323D4E
	v_fma_f32 v84, v8, v4, v84                                 // 000000007C44: D1CB0054 05520908
	v_fma_f32 v85, v9, v4, v85                                 // 000000007C4C: D1CB0055 05560909
	v_fma_f32 v86, v10, v4, v86                                // 000000007C54: D1CB0056 055A090A
	v_fma_f32 v87, v11, v4, v87                                // 000000007C5C: D1CB0057 055E090B
	v_mul_f32_dpp v4, v24, v38 row_newbcast:1 row_mask:0xf bank_mask:0xf// 000000007C64: 0A084CFA FF015118
	v_mfma_f32_16x16x32_fp8_fp8 v[8:11], a[72:73], a[32:33], 0 // 000000007C6C: D3F30008 1A024148
	buffer_load_dword v34, v28, s[28:31], 0 offen              // 000000007C74: E0501000 8007221C
	v_mfma_f32_16x16x32_fp8_fp8 v[8:11], a[74:75], a[34:35], v[8:11]// 000000007C7C: D3F30008 1C22454A
	v_mfma_f32_16x16x32_fp8_fp8 v[8:11], a[76:77], a[36:37], v[8:11]// 000000007C84: D3F30008 1C22494C
	buffer_load_dword v35, v29, s[28:31], 0 offen              // 000000007C8C: E0501000 8007231D
	v_mfma_f32_16x16x32_fp8_fp8 v[8:11], a[78:79], a[38:39], v[8:11]// 000000007C94: D3F30008 1C224D4E
	v_fma_f32 v88, v12, v6, v88                                // 000000007C9C: D1CB0058 05620D0C
	v_fma_f32 v89, v13, v6, v89                                // 000000007CA4: D1CB0059 05660D0D
	v_fma_f32 v90, v14, v6, v90                                // 000000007CAC: D1CB005A 056A0D0E
	v_fma_f32 v91, v15, v6, v91                                // 000000007CB4: D1CB005B 056E0D0F
	v_mul_f32_dpp v6, v24, v39 row_newbcast:1 row_mask:0xf bank_mask:0xf// 000000007CBC: 0A0C4EFA FF015118
	v_mfma_f32_16x16x32_fp8_fp8 v[12:15], a[72:73], a[40:41], 0// 000000007CC4: D3F3000C 1A025148
	buffer_load_dword v36, v30, s[28:31], 0 offen              // 000000007CCC: E0501000 8007241E
	v_mfma_f32_16x16x32_fp8_fp8 v[12:15], a[74:75], a[42:43], v[12:15]// 000000007CD4: D3F3000C 1C32554A
	s_add_u32 s60, 0x80, s80                                   // 000000007CDC: 803C50FF 00000080
	s_cmp_lt_u32 s60, s81                                      // 000000007CE4: BF0A513C
	s_cselect_b32 s83, s83, 0                                  // 000000007CE8: 85538053
	s_cselect_b32 s4, s4, 0                                    // 000000007CEC: 85048004
	v_mfma_f32_16x16x32_fp8_fp8 v[12:15], a[76:77], a[44:45], v[12:15]// 000000007CF0: D3F3000C 1C32594C
	s_add_u32 s32, s4, s32                                     // 000000007CF8: 80202004
	s_addc_u32 s33, 0, s33                                     // 000000007CFC: 82212180
	v_mfma_f32_16x16x32_fp8_fp8 v[12:15], a[78:79], a[46:47], v[12:15]// 000000007D00: D3F3000C 1C325D4E
	v_fma_f32 v92, v8, v4, v92                                 // 000000007D08: D1CB005C 05720908
	v_fma_f32 v93, v9, v4, v93                                 // 000000007D10: D1CB005D 05760909
	v_fma_f32 v94, v10, v4, v94                                // 000000007D18: D1CB005E 057A090A
	v_fma_f32 v95, v11, v4, v95                                // 000000007D20: D1CB005F 057E090B
	v_fma_f32 v96, v12, v6, v96                                // 000000007D28: D1CB0060 05820D0C
	v_fma_f32 v97, v13, v6, v97                                // 000000007D30: D1CB0061 05860D0D
	v_fma_f32 v98, v14, v6, v98                                // 000000007D38: D1CB0062 058A0D0E
	v_fma_f32 v99, v15, v6, v99                                // 000000007D40: D1CB0063 058E0D0F
	s_waitcnt vmcnt(9)                                         // 000000007D48: BF8C0F79
	v_mul_f32_dpp v4, v27, v37 row_newbcast:0 row_mask:0xf bank_mask:0xf// 000000007D4C: 0A084AFA FF01501B
	v_mfma_f32_16x16x32_fp8_fp8 v[8:11], a[80:81], a[24:25], 0 // 000000007D54: D3F30008 1A023150
	buffer_load_dword v24, v22, s[32:35], 0 offen              // 000000007D5C: E0501000 80081816
	buffer_load_dwordx4 a[48:51], v46, s[24:27], 0 offen       // 000000007D64: E05C1000 8086302E
	v_mfma_f32_16x16x32_fp8_fp8 v[8:11], a[82:83], a[26:27], v[8:11]// 000000007D6C: D3F30008 1C223552
	v_mfma_f32_16x16x32_fp8_fp8 v[8:11], a[84:85], a[28:29], v[8:11]// 000000007D74: D3F30008 1C223954
	ds_read_b128 a[0:3], v2                                    // 000000007D7C: DBFE0000 00000002
	ds_read_b128 a[4:7], v2 offset:64                          // 000000007D84: DBFE0040 04000002
	v_mfma_f32_16x16x32_fp8_fp8 v[8:11], a[86:87], a[30:31], v[8:11]// 000000007D8C: D3F30008 1C223D56
	v_mfma_f32_16x16x32_fp8_fp8 v[12:15], a[88:89], a[24:25], 0// 000000007D94: D3F3000C 1A023158
	buffer_load_dwordx4 a[52:55], v46, s[24:27], 0 offen offset:1024// 000000007D9C: E05C1400 8086342E
	v_mfma_f32_16x16x32_fp8_fp8 v[12:15], a[90:91], a[26:27], v[12:15]// 000000007DA4: D3F3000C 1C32355A
	v_mfma_f32_16x16x32_fp8_fp8 v[12:15], a[92:93], a[28:29], v[12:15]// 000000007DAC: D3F3000C 1C32395C
	ds_read_b128 a[8:11], v2 offset:512                        // 000000007DB4: DBFE0200 08000002
	ds_read_b128 a[12:15], v2 offset:576                       // 000000007DBC: DBFE0240 0C000002
	v_mfma_f32_16x16x32_fp8_fp8 v[12:15], a[94:95], a[30:31], v[12:15]// 000000007DC4: D3F3000C 1C323D5E
	v_fma_f32 v100, v8, v4, v100                               // 000000007DCC: D1CB0064 05920908
	v_fma_f32 v101, v9, v4, v101                               // 000000007DD4: D1CB0065 05960909
	v_fma_f32 v102, v10, v4, v102                              // 000000007DDC: D1CB0066 059A090A
	v_fma_f32 v103, v11, v4, v103                              // 000000007DE4: D1CB0067 059E090B
	v_mul_f32_dpp v6, v27, v37 row_newbcast:1 row_mask:0xf bank_mask:0xf// 000000007DEC: 0A0C4AFA FF01511B
	v_mfma_f32_16x16x32_fp8_fp8 v[8:11], a[96:97], a[24:25], 0 // 000000007DF4: D3F30008 1A023160
	buffer_load_dwordx4 a[56:59], v47, s[24:27], 0 offen       // 000000007DFC: E05C1000 8086382F
	v_mfma_f32_16x16x32_fp8_fp8 v[8:11], a[98:99], a[26:27], v[8:11]// 000000007E04: D3F30008 1C223562
	v_mfma_f32_16x16x32_fp8_fp8 v[8:11], a[100:101], a[28:29], v[8:11]// 000000007E0C: D3F30008 1C223964
	ds_read_b128 a[16:19], v2 offset:1024                      // 000000007E14: DBFE0400 10000002
	ds_read_b128 a[20:23], v2 offset:1088                      // 000000007E1C: DBFE0440 14000002
	v_mfma_f32_16x16x32_fp8_fp8 v[8:11], a[102:103], a[30:31], v[8:11]// 000000007E24: D3F30008 1C223D66
	v_fma_f32 v112, v12, v4, v112                              // 000000007E2C: D1CB0070 05C2090C
	v_fma_f32 v113, v13, v4, v113                              // 000000007E34: D1CB0071 05C6090D
	v_fma_f32 v114, v14, v4, v114                              // 000000007E3C: D1CB0072 05CA090E
	v_fma_f32 v115, v15, v4, v115                              // 000000007E44: D1CB0073 05CE090F
	v_mfma_f32_16x16x32_fp8_fp8 v[12:15], a[104:105], a[24:25], 0// 000000007E4C: D3F3000C 1A023168
	buffer_load_dwordx4 a[60:63], v47, s[24:27], 0 offen offset:1024// 000000007E54: E05C1400 80863C2F
	v_mfma_f32_16x16x32_fp8_fp8 v[12:15], a[106:107], a[26:27], v[12:15]// 000000007E5C: D3F3000C 1C32356A
	v_mfma_f32_16x16x32_fp8_fp8 v[12:15], a[108:109], a[28:29], v[12:15]// 000000007E64: D3F3000C 1C32396C
	v_mfma_f32_16x16x32_fp8_fp8 v[12:15], a[110:111], a[30:31], v[12:15]// 000000007E6C: D3F3000C 1C323D6E
	v_fma_f32 v124, v8, v6, v124                               // 000000007E74: D1CB007C 05F20D08
	v_fma_f32 v125, v9, v6, v125                               // 000000007E7C: D1CB007D 05F60D09
	v_fma_f32 v126, v10, v6, v126                              // 000000007E84: D1CB007E 05FA0D0A
	v_fma_f32 v127, v11, v6, v127                              // 000000007E8C: D1CB007F 05FE0D0B
	v_mul_f32_dpp v4, v27, v38 row_newbcast:0 row_mask:0xf bank_mask:0xf// 000000007E94: 0A084CFA FF01501B
	v_mfma_f32_16x16x32_fp8_fp8 v[8:11], a[80:81], a[32:33], 0 // 000000007E9C: D3F30008 1A024150
	buffer_load_dwordx4 a[64:67], v48, s[24:27], 0 offen       // 000000007EA4: E05C1000 80864030
	v_mfma_f32_16x16x32_fp8_fp8 v[8:11], a[82:83], a[34:35], v[8:11]// 000000007EAC: D3F30008 1C224552
	v_mfma_f32_16x16x32_fp8_fp8 v[8:11], a[84:85], a[36:37], v[8:11]// 000000007EB4: D3F30008 1C224954
	v_mfma_f32_16x16x32_fp8_fp8 v[8:11], a[86:87], a[38:39], v[8:11]// 000000007EBC: D3F30008 1C224D56
	v_fma_f32 v136, v12, v6, v136                              // 000000007EC4: D1CB0088 06220D0C
	v_fma_f32 v137, v13, v6, v137                              // 000000007ECC: D1CB0089 06260D0D
	v_fma_f32 v138, v14, v6, v138                              // 000000007ED4: D1CB008A 062A0D0E
	v_fma_f32 v139, v15, v6, v139                              // 000000007EDC: D1CB008B 062E0D0F
	v_mfma_f32_16x16x32_fp8_fp8 v[12:15], a[88:89], a[32:33], 0// 000000007EE4: D3F3000C 1A024158
	buffer_load_dwordx4 a[68:71], v48, s[24:27], 0 offen offset:1024// 000000007EEC: E05C1400 80864430
	v_mfma_f32_16x16x32_fp8_fp8 v[12:15], a[90:91], a[34:35], v[12:15]// 000000007EF4: D3F3000C 1C32455A
	v_mfma_f32_16x16x32_fp8_fp8 v[12:15], a[92:93], a[36:37], v[12:15]// 000000007EFC: D3F3000C 1C32495C
	v_mfma_f32_16x16x32_fp8_fp8 v[12:15], a[94:95], a[38:39], v[12:15]// 000000007F04: D3F3000C 1C324D5E
	v_fma_f32 v104, v8, v4, v104                               // 000000007F0C: D1CB0068 05A20908
	v_fma_f32 v105, v9, v4, v105                               // 000000007F14: D1CB0069 05A60909
	v_fma_f32 v106, v10, v4, v106                              // 000000007F1C: D1CB006A 05AA090A
	v_fma_f32 v107, v11, v4, v107                              // 000000007F24: D1CB006B 05AE090B
	v_mul_f32_dpp v6, v27, v38 row_newbcast:1 row_mask:0xf bank_mask:0xf// 000000007F2C: 0A0C4CFA FF01511B
	v_mfma_f32_16x16x32_fp8_fp8 v[8:11], a[96:97], a[32:33], 0 // 000000007F34: D3F30008 1A024160
	buffer_load_dwordx4 a[72:75], v49, s[24:27], 0 offen       // 000000007F3C: E05C1000 80864831
	v_mfma_f32_16x16x32_fp8_fp8 v[8:11], a[98:99], a[34:35], v[8:11]// 000000007F44: D3F30008 1C224562
	v_mfma_f32_16x16x32_fp8_fp8 v[8:11], a[100:101], a[36:37], v[8:11]// 000000007F4C: D3F30008 1C224964
	v_mfma_f32_16x16x32_fp8_fp8 v[8:11], a[102:103], a[38:39], v[8:11]// 000000007F54: D3F30008 1C224D66
	v_fma_f32 v116, v12, v4, v116                              // 000000007F5C: D1CB0074 05D2090C
	v_fma_f32 v117, v13, v4, v117                              // 000000007F64: D1CB0075 05D6090D
	v_fma_f32 v118, v14, v4, v118                              // 000000007F6C: D1CB0076 05DA090E
	v_fma_f32 v119, v15, v4, v119                              // 000000007F74: D1CB0077 05DE090F
	v_mfma_f32_16x16x32_fp8_fp8 v[12:15], a[104:105], a[32:33], 0// 000000007F7C: D3F3000C 1A024168
	buffer_load_dwordx4 a[76:79], v49, s[24:27], 0 offen offset:1024// 000000007F84: E05C1400 80864C31
	v_mfma_f32_16x16x32_fp8_fp8 v[12:15], a[106:107], a[34:35], v[12:15]// 000000007F8C: D3F3000C 1C32456A
	v_mfma_f32_16x16x32_fp8_fp8 v[12:15], a[108:109], a[36:37], v[12:15]// 000000007F94: D3F3000C 1C32496C
	v_mfma_f32_16x16x32_fp8_fp8 v[12:15], a[110:111], a[38:39], v[12:15]// 000000007F9C: D3F3000C 1C324D6E
	v_fma_f32 v128, v8, v6, v128                               // 000000007FA4: D1CB0080 06020D08
	v_fma_f32 v129, v9, v6, v129                               // 000000007FAC: D1CB0081 06060D09
	v_fma_f32 v130, v10, v6, v130                              // 000000007FB4: D1CB0082 060A0D0A
	v_fma_f32 v131, v11, v6, v131                              // 000000007FBC: D1CB0083 060E0D0B
	v_mul_f32_dpp v4, v27, v39 row_newbcast:0 row_mask:0xf bank_mask:0xf// 000000007FC4: 0A084EFA FF01501B
	v_mfma_f32_16x16x32_fp8_fp8 v[8:11], a[80:81], a[40:41], 0 // 000000007FCC: D3F30008 1A025150
	v_mfma_f32_16x16x32_fp8_fp8 v[8:11], a[82:83], a[42:43], v[8:11]// 000000007FD4: D3F30008 1C225552
	v_mfma_f32_16x16x32_fp8_fp8 v[8:11], a[84:85], a[44:45], v[8:11]// 000000007FDC: D3F30008 1C225954
	v_mfma_f32_16x16x32_fp8_fp8 v[8:11], a[86:87], a[46:47], v[8:11]// 000000007FE4: D3F30008 1C225D56
	v_fma_f32 v140, v12, v6, v140                              // 000000007FEC: D1CB008C 06320D0C
	v_fma_f32 v141, v13, v6, v141                              // 000000007FF4: D1CB008D 06360D0D
	v_fma_f32 v142, v14, v6, v142                              // 000000007FFC: D1CB008E 063A0D0E
	v_fma_f32 v143, v15, v6, v143                              // 000000008004: D1CB008F 063E0D0F
	v_mfma_f32_16x16x32_fp8_fp8 v[12:15], a[88:89], a[40:41], 0// 00000000800C: D3F3000C 1A025158
	v_mfma_f32_16x16x32_fp8_fp8 v[12:15], a[90:91], a[42:43], v[12:15]// 000000008014: D3F3000C 1C32555A
	v_mfma_f32_16x16x32_fp8_fp8 v[12:15], a[92:93], a[44:45], v[12:15]// 00000000801C: D3F3000C 1C32595C
	v_mfma_f32_16x16x32_fp8_fp8 v[12:15], a[94:95], a[46:47], v[12:15]// 000000008024: D3F3000C 1C325D5E
	v_fma_f32 v108, v8, v4, v108                               // 00000000802C: D1CB006C 05B20908
	v_fma_f32 v109, v9, v4, v109                               // 000000008034: D1CB006D 05B60909
	v_fma_f32 v110, v10, v4, v110                              // 00000000803C: D1CB006E 05BA090A
	v_fma_f32 v111, v11, v4, v111                              // 000000008044: D1CB006F 05BE090B
	v_mul_f32_dpp v6, v27, v39 row_newbcast:1 row_mask:0xf bank_mask:0xf// 00000000804C: 0A0C4EFA FF01511B
	v_mfma_f32_16x16x32_fp8_fp8 v[8:11], a[96:97], a[40:41], 0 // 000000008054: D3F30008 1A025160
	v_mfma_f32_16x16x32_fp8_fp8 v[8:11], a[98:99], a[42:43], v[8:11]// 00000000805C: D3F30008 1C225562
	v_mfma_f32_16x16x32_fp8_fp8 v[8:11], a[100:101], a[44:45], v[8:11]// 000000008064: D3F30008 1C225964
	s_add_u32 s60, 0x180, s80                                  // 00000000806C: 803C50FF 00000180
	s_cmp_lt_u32 s60, s81                                      // 000000008074: BF0A513C
	s_cselect_b32 s57, s57, 0                                  // 000000008078: 85398039
	s_cselect_b32 s3, s3, 0                                    // 00000000807C: 85038003
	v_mfma_f32_16x16x32_fp8_fp8 v[8:11], a[102:103], a[46:47], v[8:11]// 000000008080: D3F30008 1C225D66
	s_add_u32 s60, 0x100, s80                                  // 000000008088: 803C50FF 00000100
	s_cmp_lt_u32 s60, s81                                      // 000000008090: BF0A513C
	s_cselect_b32 s58, s58, 0                                  // 000000008094: 853A803A
	v_fma_f32 v120, v12, v4, v120                              // 000000008098: D1CB0078 05E2090C
	v_fma_f32 v121, v13, v4, v121                              // 0000000080A0: D1CB0079 05E6090D
	v_fma_f32 v122, v14, v4, v122                              // 0000000080A8: D1CB007A 05EA090E
	v_fma_f32 v123, v15, v4, v123                              // 0000000080B0: D1CB007B 05EE090F
	v_mfma_f32_16x16x32_fp8_fp8 v[12:15], a[104:105], a[40:41], 0// 0000000080B8: D3F3000C 1A025168
	s_add_u32 s24, s58, s24                                    // 0000000080C0: 8018183A
	s_addc_u32 s25, 0, s25                                     // 0000000080C4: 82191980
	v_mfma_f32_16x16x32_fp8_fp8 v[12:15], a[106:107], a[42:43], v[12:15]// 0000000080C8: D3F3000C 1C32556A
	s_add_u32 s20, s57, s20                                    // 0000000080D0: 80141439
	s_addc_u32 s21, 0, s21                                     // 0000000080D4: 82151580
	s_add_u32 s28, s3, s28                                     // 0000000080D8: 801C1C03
	s_addc_u32 s29, 0, s29                                     // 0000000080DC: 821D1D80
	v_mfma_f32_16x16x32_fp8_fp8 v[12:15], a[108:109], a[44:45], v[12:15]// 0000000080E0: D3F3000C 1C32596C
	s_add_u32 s84, s83, s84                                    // 0000000080E8: 80545453
	s_addc_u32 s85, 0, s85                                     // 0000000080EC: 82555580
	v_mfma_f32_16x16x32_fp8_fp8 v[12:15], a[110:111], a[46:47], v[12:15]// 0000000080F0: D3F3000C 1C325D6E
	v_fma_f32 v132, v8, v6, v132                               // 0000000080F8: D1CB0084 06120D08
	v_fma_f32 v133, v9, v6, v133                               // 000000008100: D1CB0085 06160D09
	v_fma_f32 v134, v10, v6, v134                              // 000000008108: D1CB0086 061A0D0A
	v_fma_f32 v135, v11, v6, v135                              // 000000008110: D1CB0087 061E0D0B
	v_fma_f32 v144, v12, v6, v144                              // 000000008118: D1CB0090 06420D0C
	v_fma_f32 v145, v13, v6, v145                              // 000000008120: D1CB0091 06460D0D
	v_fma_f32 v146, v14, v6, v146                              // 000000008128: D1CB0092 064A0D0E
	v_fma_f32 v147, v15, v6, v147                              // 000000008130: D1CB0093 064E0D0F
	s_addk_i32 s80, 0x80                                       // 000000008138: B7500080
	s_cmp_lt_i32 s80, s81                                      // 00000000813C: BF045150
	s_cbranch_scc0 label_15D5                                  // 000000008140: BF840001
	s_branch label_11AA                                        // 000000008144: BF82FBD5

0000000000008148 <label_15D5>:
	s_cmp_eq_u32 s88, 0                                        // 000000008148: BF068058
	s_cbranch_scc0 label_1CE8                                  // 00000000814C: BF840711
	s_cmp_eq_u32 s89, 0                                        // 000000008150: BF068059
	s_cbranch_scc1 label_17BE                                  // 000000008154: BF8501E5
	v_mov_b32_e32 v8, v1                                       // 000000008158: 7E100301
	v_mov_b32_e32 v9, v1                                       // 00000000815C: 7E120301
	s_mov_b32 s60, s6                                          // 000000008160: BEBC0006
	s_mov_b32 s61, s6                                          // 000000008164: BEBD0006
	v_pk_mul_f32 v[4:5], v[52:53], v[52:53]                    // 000000008168: D3B14004 18026934
	v_pk_mul_f32 v[6:7], v[54:55], v[54:55]                    // 000000008170: D3B14006 18026D36
	v_pk_fma_f32 v[4:5], v[4:5], s[78:79], v[8:9]              // 000000008178: D3B04004 1C209D04
	v_pk_fma_f32 v[6:7], v[6:7], s[78:79], v[8:9]              // 000000008180: D3B04006 1C209D06
	v_pk_mul_f32 v[4:5], v[4:5], v[52:53]                      // 000000008188: D3B14004 18026904
	v_pk_mul_f32 v[6:7], v[6:7], v[54:55]                      // 000000008190: D3B14006 18026D06
	v_pk_mul_f32 v[4:5], v[4:5], s[60:61]                      // 000000008198: D3B14004 18007904
	v_pk_mul_f32 v[6:7], v[6:7], s[60:61]                      // 0000000081A0: D3B14006 18007906
	v_exp_f32_e32 v4, v4                                       // 0000000081A8: 7E084104
	v_exp_f32_e32 v5, v5                                       // 0000000081AC: 7E0A4105
	v_exp_f32_e32 v6, v6                                       // 0000000081B0: 7E0C4106
	v_exp_f32_e32 v7, v7                                       // 0000000081B4: 7E0E4107
	v_add_f32_e64 v4, v4, 1.0                                  // 0000000081B8: D1010004 0001E504
	v_add_f32_e64 v5, v5, 1.0                                  // 0000000081C0: D1010005 0001E505
	v_add_f32_e64 v6, v6, 1.0                                  // 0000000081C8: D1010006 0001E506
	v_add_f32_e64 v7, v7, 1.0                                  // 0000000081D0: D1010007 0001E507
	v_rcp_f32_e32 v4, v4                                       // 0000000081D8: 7E084504
	v_rcp_f32_e32 v5, v5                                       // 0000000081DC: 7E0A4505
	v_rcp_f32_e32 v6, v6                                       // 0000000081E0: 7E0C4506
	v_rcp_f32_e32 v7, v7                                       // 0000000081E4: 7E0E4507
	v_mul_f32_e32 v52, v52, v4                                 // 0000000081E8: 0A680934
	v_mul_f32_e32 v53, v53, v5                                 // 0000000081EC: 0A6A0B35
	v_mul_f32_e32 v54, v54, v6                                 // 0000000081F0: 0A6C0D36
	v_mul_f32_e32 v55, v55, v7                                 // 0000000081F4: 0A6E0F37
	v_mul_f32_e32 v52, v52, v100                               // 0000000081F8: 0A68C934
	v_mul_f32_e32 v53, v53, v101                               // 0000000081FC: 0A6ACB35
	v_mul_f32_e32 v54, v54, v102                               // 000000008200: 0A6CCD36
	v_mul_f32_e32 v55, v55, v103                               // 000000008204: 0A6ECF37
	v_pk_mul_f32 v[4:5], v[56:57], v[56:57]                    // 000000008208: D3B14004 18027138
	v_pk_mul_f32 v[6:7], v[58:59], v[58:59]                    // 000000008210: D3B14006 1802753A
	v_pk_fma_f32 v[4:5], v[4:5], s[78:79], v[8:9]              // 000000008218: D3B04004 1C209D04
	v_pk_fma_f32 v[6:7], v[6:7], s[78:79], v[8:9]              // 000000008220: D3B04006 1C209D06
	v_pk_mul_f32 v[4:5], v[4:5], v[56:57]                      // 000000008228: D3B14004 18027104
	v_pk_mul_f32 v[6:7], v[6:7], v[58:59]                      // 000000008230: D3B14006 18027506
	v_pk_mul_f32 v[4:5], v[4:5], s[60:61]                      // 000000008238: D3B14004 18007904
	v_pk_mul_f32 v[6:7], v[6:7], s[60:61]                      // 000000008240: D3B14006 18007906
	v_exp_f32_e32 v4, v4                                       // 000000008248: 7E084104
	v_exp_f32_e32 v5, v5                                       // 00000000824C: 7E0A4105
	v_exp_f32_e32 v6, v6                                       // 000000008250: 7E0C4106
	v_exp_f32_e32 v7, v7                                       // 000000008254: 7E0E4107
	v_add_f32_e64 v4, v4, 1.0                                  // 000000008258: D1010004 0001E504
	v_add_f32_e64 v5, v5, 1.0                                  // 000000008260: D1010005 0001E505
	v_add_f32_e64 v6, v6, 1.0                                  // 000000008268: D1010006 0001E506
	v_add_f32_e64 v7, v7, 1.0                                  // 000000008270: D1010007 0001E507
	v_rcp_f32_e32 v4, v4                                       // 000000008278: 7E084504
	v_rcp_f32_e32 v5, v5                                       // 00000000827C: 7E0A4505
	v_rcp_f32_e32 v6, v6                                       // 000000008280: 7E0C4506
	v_rcp_f32_e32 v7, v7                                       // 000000008284: 7E0E4507
	v_mul_f32_e32 v56, v56, v4                                 // 000000008288: 0A700938
	v_mul_f32_e32 v57, v57, v5                                 // 00000000828C: 0A720B39
	v_mul_f32_e32 v58, v58, v6                                 // 000000008290: 0A740D3A
	v_mul_f32_e32 v59, v59, v7                                 // 000000008294: 0A760F3B
	v_mul_f32_e32 v56, v56, v104                               // 000000008298: 0A70D138
	v_mul_f32_e32 v57, v57, v105                               // 00000000829C: 0A72D339
	v_mul_f32_e32 v58, v58, v106                               // 0000000082A0: 0A74D53A
	v_mul_f32_e32 v59, v59, v107                               // 0000000082A4: 0A76D73B
	v_pk_mul_f32 v[4:5], v[60:61], v[60:61]                    // 0000000082A8: D3B14004 1802793C
	v_pk_mul_f32 v[6:7], v[62:63], v[62:63]                    // 0000000082B0: D3B14006 18027D3E
	v_pk_fma_f32 v[4:5], v[4:5], s[78:79], v[8:9]              // 0000000082B8: D3B04004 1C209D04
	v_pk_fma_f32 v[6:7], v[6:7], s[78:79], v[8:9]              // 0000000082C0: D3B04006 1C209D06
	v_pk_mul_f32 v[4:5], v[4:5], v[60:61]                      // 0000000082C8: D3B14004 18027904
	v_pk_mul_f32 v[6:7], v[6:7], v[62:63]                      // 0000000082D0: D3B14006 18027D06
	v_pk_mul_f32 v[4:5], v[4:5], s[60:61]                      // 0000000082D8: D3B14004 18007904
	v_pk_mul_f32 v[6:7], v[6:7], s[60:61]                      // 0000000082E0: D3B14006 18007906
	v_exp_f32_e32 v4, v4                                       // 0000000082E8: 7E084104
	v_exp_f32_e32 v5, v5                                       // 0000000082EC: 7E0A4105
	v_exp_f32_e32 v6, v6                                       // 0000000082F0: 7E0C4106
	v_exp_f32_e32 v7, v7                                       // 0000000082F4: 7E0E4107
	v_add_f32_e64 v4, v4, 1.0                                  // 0000000082F8: D1010004 0001E504
	v_add_f32_e64 v5, v5, 1.0                                  // 000000008300: D1010005 0001E505
	v_add_f32_e64 v6, v6, 1.0                                  // 000000008308: D1010006 0001E506
	v_add_f32_e64 v7, v7, 1.0                                  // 000000008310: D1010007 0001E507
	v_rcp_f32_e32 v4, v4                                       // 000000008318: 7E084504
	v_rcp_f32_e32 v5, v5                                       // 00000000831C: 7E0A4505
	v_rcp_f32_e32 v6, v6                                       // 000000008320: 7E0C4506
	v_rcp_f32_e32 v7, v7                                       // 000000008324: 7E0E4507
	v_mul_f32_e32 v60, v60, v4                                 // 000000008328: 0A78093C
	v_mul_f32_e32 v61, v61, v5                                 // 00000000832C: 0A7A0B3D
	v_mul_f32_e32 v62, v62, v6                                 // 000000008330: 0A7C0D3E
	v_mul_f32_e32 v63, v63, v7                                 // 000000008334: 0A7E0F3F
	v_mul_f32_e32 v60, v60, v108                               // 000000008338: 0A78D93C
	v_mul_f32_e32 v61, v61, v109                               // 00000000833C: 0A7ADB3D
	v_mul_f32_e32 v62, v62, v110                               // 000000008340: 0A7CDD3E
	v_mul_f32_e32 v63, v63, v111                               // 000000008344: 0A7EDF3F
	v_pk_mul_f32 v[4:5], v[64:65], v[64:65]                    // 000000008348: D3B14004 18028140
	v_pk_mul_f32 v[6:7], v[66:67], v[66:67]                    // 000000008350: D3B14006 18028542
	v_pk_fma_f32 v[4:5], v[4:5], s[78:79], v[8:9]              // 000000008358: D3B04004 1C209D04
	v_pk_fma_f32 v[6:7], v[6:7], s[78:79], v[8:9]              // 000000008360: D3B04006 1C209D06
	v_pk_mul_f32 v[4:5], v[4:5], v[64:65]                      // 000000008368: D3B14004 18028104
	v_pk_mul_f32 v[6:7], v[6:7], v[66:67]                      // 000000008370: D3B14006 18028506
	v_pk_mul_f32 v[4:5], v[4:5], s[60:61]                      // 000000008378: D3B14004 18007904
	v_pk_mul_f32 v[6:7], v[6:7], s[60:61]                      // 000000008380: D3B14006 18007906
	v_exp_f32_e32 v4, v4                                       // 000000008388: 7E084104
	v_exp_f32_e32 v5, v5                                       // 00000000838C: 7E0A4105
	v_exp_f32_e32 v6, v6                                       // 000000008390: 7E0C4106
	v_exp_f32_e32 v7, v7                                       // 000000008394: 7E0E4107
	v_add_f32_e64 v4, v4, 1.0                                  // 000000008398: D1010004 0001E504
	v_add_f32_e64 v5, v5, 1.0                                  // 0000000083A0: D1010005 0001E505
	v_add_f32_e64 v6, v6, 1.0                                  // 0000000083A8: D1010006 0001E506
	v_add_f32_e64 v7, v7, 1.0                                  // 0000000083B0: D1010007 0001E507
	v_rcp_f32_e32 v4, v4                                       // 0000000083B8: 7E084504
	v_rcp_f32_e32 v5, v5                                       // 0000000083BC: 7E0A4505
	v_rcp_f32_e32 v6, v6                                       // 0000000083C0: 7E0C4506
	v_rcp_f32_e32 v7, v7                                       // 0000000083C4: 7E0E4507
	v_mul_f32_e32 v64, v64, v4                                 // 0000000083C8: 0A800940
	v_mul_f32_e32 v65, v65, v5                                 // 0000000083CC: 0A820B41
	v_mul_f32_e32 v66, v66, v6                                 // 0000000083D0: 0A840D42
	v_mul_f32_e32 v67, v67, v7                                 // 0000000083D4: 0A860F43
	v_mul_f32_e32 v64, v64, v112                               // 0000000083D8: 0A80E140
	v_mul_f32_e32 v65, v65, v113                               // 0000000083DC: 0A82E341
	v_mul_f32_e32 v66, v66, v114                               // 0000000083E0: 0A84E542
	v_mul_f32_e32 v67, v67, v115                               // 0000000083E4: 0A86E743
	v_pk_mul_f32 v[4:5], v[68:69], v[68:69]                    // 0000000083E8: D3B14004 18028944
	v_pk_mul_f32 v[6:7], v[70:71], v[70:71]                    // 0000000083F0: D3B14006 18028D46
	v_pk_fma_f32 v[4:5], v[4:5], s[78:79], v[8:9]              // 0000000083F8: D3B04004 1C209D04
	v_pk_fma_f32 v[6:7], v[6:7], s[78:79], v[8:9]              // 000000008400: D3B04006 1C209D06
	v_pk_mul_f32 v[4:5], v[4:5], v[68:69]                      // 000000008408: D3B14004 18028904
	v_pk_mul_f32 v[6:7], v[6:7], v[70:71]                      // 000000008410: D3B14006 18028D06
	v_pk_mul_f32 v[4:5], v[4:5], s[60:61]                      // 000000008418: D3B14004 18007904
	v_pk_mul_f32 v[6:7], v[6:7], s[60:61]                      // 000000008420: D3B14006 18007906
	v_exp_f32_e32 v4, v4                                       // 000000008428: 7E084104
	v_exp_f32_e32 v5, v5                                       // 00000000842C: 7E0A4105
	v_exp_f32_e32 v6, v6                                       // 000000008430: 7E0C4106
	v_exp_f32_e32 v7, v7                                       // 000000008434: 7E0E4107
	v_add_f32_e64 v4, v4, 1.0                                  // 000000008438: D1010004 0001E504
	v_add_f32_e64 v5, v5, 1.0                                  // 000000008440: D1010005 0001E505
	v_add_f32_e64 v6, v6, 1.0                                  // 000000008448: D1010006 0001E506
	v_add_f32_e64 v7, v7, 1.0                                  // 000000008450: D1010007 0001E507
	v_rcp_f32_e32 v4, v4                                       // 000000008458: 7E084504
	v_rcp_f32_e32 v5, v5                                       // 00000000845C: 7E0A4505
	v_rcp_f32_e32 v6, v6                                       // 000000008460: 7E0C4506
	v_rcp_f32_e32 v7, v7                                       // 000000008464: 7E0E4507
	v_mul_f32_e32 v68, v68, v4                                 // 000000008468: 0A880944
	v_mul_f32_e32 v69, v69, v5                                 // 00000000846C: 0A8A0B45
	v_mul_f32_e32 v70, v70, v6                                 // 000000008470: 0A8C0D46
	v_mul_f32_e32 v71, v71, v7                                 // 000000008474: 0A8E0F47
	v_mul_f32_e32 v68, v68, v116                               // 000000008478: 0A88E944
	v_mul_f32_e32 v69, v69, v117                               // 00000000847C: 0A8AEB45
	v_mul_f32_e32 v70, v70, v118                               // 000000008480: 0A8CED46
	v_mul_f32_e32 v71, v71, v119                               // 000000008484: 0A8EEF47
	v_pk_mul_f32 v[4:5], v[72:73], v[72:73]                    // 000000008488: D3B14004 18029148
	v_pk_mul_f32 v[6:7], v[74:75], v[74:75]                    // 000000008490: D3B14006 1802954A
	v_pk_fma_f32 v[4:5], v[4:5], s[78:79], v[8:9]              // 000000008498: D3B04004 1C209D04
	v_pk_fma_f32 v[6:7], v[6:7], s[78:79], v[8:9]              // 0000000084A0: D3B04006 1C209D06
	v_pk_mul_f32 v[4:5], v[4:5], v[72:73]                      // 0000000084A8: D3B14004 18029104
	v_pk_mul_f32 v[6:7], v[6:7], v[74:75]                      // 0000000084B0: D3B14006 18029506
	v_pk_mul_f32 v[4:5], v[4:5], s[60:61]                      // 0000000084B8: D3B14004 18007904
	v_pk_mul_f32 v[6:7], v[6:7], s[60:61]                      // 0000000084C0: D3B14006 18007906
	v_exp_f32_e32 v4, v4                                       // 0000000084C8: 7E084104
	v_exp_f32_e32 v5, v5                                       // 0000000084CC: 7E0A4105
	v_exp_f32_e32 v6, v6                                       // 0000000084D0: 7E0C4106
	v_exp_f32_e32 v7, v7                                       // 0000000084D4: 7E0E4107
	v_add_f32_e64 v4, v4, 1.0                                  // 0000000084D8: D1010004 0001E504
	v_add_f32_e64 v5, v5, 1.0                                  // 0000000084E0: D1010005 0001E505
	v_add_f32_e64 v6, v6, 1.0                                  // 0000000084E8: D1010006 0001E506
	v_add_f32_e64 v7, v7, 1.0                                  // 0000000084F0: D1010007 0001E507
	v_rcp_f32_e32 v4, v4                                       // 0000000084F8: 7E084504
	v_rcp_f32_e32 v5, v5                                       // 0000000084FC: 7E0A4505
	v_rcp_f32_e32 v6, v6                                       // 000000008500: 7E0C4506
	v_rcp_f32_e32 v7, v7                                       // 000000008504: 7E0E4507
	v_mul_f32_e32 v72, v72, v4                                 // 000000008508: 0A900948
	v_mul_f32_e32 v73, v73, v5                                 // 00000000850C: 0A920B49
	v_mul_f32_e32 v74, v74, v6                                 // 000000008510: 0A940D4A
	v_mul_f32_e32 v75, v75, v7                                 // 000000008514: 0A960F4B
	v_mul_f32_e32 v72, v72, v120                               // 000000008518: 0A90F148
	v_mul_f32_e32 v73, v73, v121                               // 00000000851C: 0A92F349
	v_mul_f32_e32 v74, v74, v122                               // 000000008520: 0A94F54A
	v_mul_f32_e32 v75, v75, v123                               // 000000008524: 0A96F74B
	v_pk_mul_f32 v[4:5], v[76:77], v[76:77]                    // 000000008528: D3B14004 1802994C
	v_pk_mul_f32 v[6:7], v[78:79], v[78:79]                    // 000000008530: D3B14006 18029D4E
	v_pk_fma_f32 v[4:5], v[4:5], s[78:79], v[8:9]              // 000000008538: D3B04004 1C209D04
	v_pk_fma_f32 v[6:7], v[6:7], s[78:79], v[8:9]              // 000000008540: D3B04006 1C209D06
	v_pk_mul_f32 v[4:5], v[4:5], v[76:77]                      // 000000008548: D3B14004 18029904
	v_pk_mul_f32 v[6:7], v[6:7], v[78:79]                      // 000000008550: D3B14006 18029D06
	v_pk_mul_f32 v[4:5], v[4:5], s[60:61]                      // 000000008558: D3B14004 18007904
	v_pk_mul_f32 v[6:7], v[6:7], s[60:61]                      // 000000008560: D3B14006 18007906
	v_exp_f32_e32 v4, v4                                       // 000000008568: 7E084104
	v_exp_f32_e32 v5, v5                                       // 00000000856C: 7E0A4105
	v_exp_f32_e32 v6, v6                                       // 000000008570: 7E0C4106
	v_exp_f32_e32 v7, v7                                       // 000000008574: 7E0E4107
	v_add_f32_e64 v4, v4, 1.0                                  // 000000008578: D1010004 0001E504
	v_add_f32_e64 v5, v5, 1.0                                  // 000000008580: D1010005 0001E505
	v_add_f32_e64 v6, v6, 1.0                                  // 000000008588: D1010006 0001E506
	v_add_f32_e64 v7, v7, 1.0                                  // 000000008590: D1010007 0001E507
	v_rcp_f32_e32 v4, v4                                       // 000000008598: 7E084504
	v_rcp_f32_e32 v5, v5                                       // 00000000859C: 7E0A4505
	v_rcp_f32_e32 v6, v6                                       // 0000000085A0: 7E0C4506
	v_rcp_f32_e32 v7, v7                                       // 0000000085A4: 7E0E4507
	v_mul_f32_e32 v76, v76, v4                                 // 0000000085A8: 0A98094C
	v_mul_f32_e32 v77, v77, v5                                 // 0000000085AC: 0A9A0B4D
	v_mul_f32_e32 v78, v78, v6                                 // 0000000085B0: 0A9C0D4E
	v_mul_f32_e32 v79, v79, v7                                 // 0000000085B4: 0A9E0F4F
	v_mul_f32_e32 v76, v76, v124                               // 0000000085B8: 0A98F94C
	v_mul_f32_e32 v77, v77, v125                               // 0000000085BC: 0A9AFB4D
	v_mul_f32_e32 v78, v78, v126                               // 0000000085C0: 0A9CFD4E
	v_mul_f32_e32 v79, v79, v127                               // 0000000085C4: 0A9EFF4F
	v_pk_mul_f32 v[4:5], v[80:81], v[80:81]                    // 0000000085C8: D3B14004 1802A150
	v_pk_mul_f32 v[6:7], v[82:83], v[82:83]                    // 0000000085D0: D3B14006 1802A552
	v_pk_fma_f32 v[4:5], v[4:5], s[78:79], v[8:9]              // 0000000085D8: D3B04004 1C209D04
	v_pk_fma_f32 v[6:7], v[6:7], s[78:79], v[8:9]              // 0000000085E0: D3B04006 1C209D06
	v_pk_mul_f32 v[4:5], v[4:5], v[80:81]                      // 0000000085E8: D3B14004 1802A104
	v_pk_mul_f32 v[6:7], v[6:7], v[82:83]                      // 0000000085F0: D3B14006 1802A506
	v_pk_mul_f32 v[4:5], v[4:5], s[60:61]                      // 0000000085F8: D3B14004 18007904
	v_pk_mul_f32 v[6:7], v[6:7], s[60:61]                      // 000000008600: D3B14006 18007906
	v_exp_f32_e32 v4, v4                                       // 000000008608: 7E084104
	v_exp_f32_e32 v5, v5                                       // 00000000860C: 7E0A4105
	v_exp_f32_e32 v6, v6                                       // 000000008610: 7E0C4106
	v_exp_f32_e32 v7, v7                                       // 000000008614: 7E0E4107
	v_add_f32_e64 v4, v4, 1.0                                  // 000000008618: D1010004 0001E504
	v_add_f32_e64 v5, v5, 1.0                                  // 000000008620: D1010005 0001E505
	v_add_f32_e64 v6, v6, 1.0                                  // 000000008628: D1010006 0001E506
	v_add_f32_e64 v7, v7, 1.0                                  // 000000008630: D1010007 0001E507
	v_rcp_f32_e32 v4, v4                                       // 000000008638: 7E084504
	v_rcp_f32_e32 v5, v5                                       // 00000000863C: 7E0A4505
	v_rcp_f32_e32 v6, v6                                       // 000000008640: 7E0C4506
	v_rcp_f32_e32 v7, v7                                       // 000000008644: 7E0E4507
	v_mul_f32_e32 v80, v80, v4                                 // 000000008648: 0AA00950
	v_mul_f32_e32 v81, v81, v5                                 // 00000000864C: 0AA20B51
	v_mul_f32_e32 v82, v82, v6                                 // 000000008650: 0AA40D52
	v_mul_f32_e32 v83, v83, v7                                 // 000000008654: 0AA60F53
	v_mul_f32_e32 v80, v80, v128                               // 000000008658: 0AA10150
	v_mul_f32_e32 v81, v81, v129                               // 00000000865C: 0AA30351
	v_mul_f32_e32 v82, v82, v130                               // 000000008660: 0AA50552
	v_mul_f32_e32 v83, v83, v131                               // 000000008664: 0AA70753
	v_pk_mul_f32 v[4:5], v[84:85], v[84:85]                    // 000000008668: D3B14004 1802A954
	v_pk_mul_f32 v[6:7], v[86:87], v[86:87]                    // 000000008670: D3B14006 1802AD56
	v_pk_fma_f32 v[4:5], v[4:5], s[78:79], v[8:9]              // 000000008678: D3B04004 1C209D04
	v_pk_fma_f32 v[6:7], v[6:7], s[78:79], v[8:9]              // 000000008680: D3B04006 1C209D06
	v_pk_mul_f32 v[4:5], v[4:5], v[84:85]                      // 000000008688: D3B14004 1802A904
	v_pk_mul_f32 v[6:7], v[6:7], v[86:87]                      // 000000008690: D3B14006 1802AD06
	v_pk_mul_f32 v[4:5], v[4:5], s[60:61]                      // 000000008698: D3B14004 18007904
	v_pk_mul_f32 v[6:7], v[6:7], s[60:61]                      // 0000000086A0: D3B14006 18007906
	v_exp_f32_e32 v4, v4                                       // 0000000086A8: 7E084104
	v_exp_f32_e32 v5, v5                                       // 0000000086AC: 7E0A4105
	v_exp_f32_e32 v6, v6                                       // 0000000086B0: 7E0C4106
	v_exp_f32_e32 v7, v7                                       // 0000000086B4: 7E0E4107
	v_add_f32_e64 v4, v4, 1.0                                  // 0000000086B8: D1010004 0001E504
	v_add_f32_e64 v5, v5, 1.0                                  // 0000000086C0: D1010005 0001E505
	v_add_f32_e64 v6, v6, 1.0                                  // 0000000086C8: D1010006 0001E506
	v_add_f32_e64 v7, v7, 1.0                                  // 0000000086D0: D1010007 0001E507
	v_rcp_f32_e32 v4, v4                                       // 0000000086D8: 7E084504
	v_rcp_f32_e32 v5, v5                                       // 0000000086DC: 7E0A4505
	v_rcp_f32_e32 v6, v6                                       // 0000000086E0: 7E0C4506
	v_rcp_f32_e32 v7, v7                                       // 0000000086E4: 7E0E4507
	v_mul_f32_e32 v84, v84, v4                                 // 0000000086E8: 0AA80954
	v_mul_f32_e32 v85, v85, v5                                 // 0000000086EC: 0AAA0B55
	v_mul_f32_e32 v86, v86, v6                                 // 0000000086F0: 0AAC0D56
	v_mul_f32_e32 v87, v87, v7                                 // 0000000086F4: 0AAE0F57
	v_mul_f32_e32 v84, v84, v132                               // 0000000086F8: 0AA90954
	v_mul_f32_e32 v85, v85, v133                               // 0000000086FC: 0AAB0B55
	v_mul_f32_e32 v86, v86, v134                               // 000000008700: 0AAD0D56
	v_mul_f32_e32 v87, v87, v135                               // 000000008704: 0AAF0F57
	v_pk_mul_f32 v[4:5], v[88:89], v[88:89]                    // 000000008708: D3B14004 1802B158
	v_pk_mul_f32 v[6:7], v[90:91], v[90:91]                    // 000000008710: D3B14006 1802B55A
	v_pk_fma_f32 v[4:5], v[4:5], s[78:79], v[8:9]              // 000000008718: D3B04004 1C209D04
	v_pk_fma_f32 v[6:7], v[6:7], s[78:79], v[8:9]              // 000000008720: D3B04006 1C209D06
	v_pk_mul_f32 v[4:5], v[4:5], v[88:89]                      // 000000008728: D3B14004 1802B104
	v_pk_mul_f32 v[6:7], v[6:7], v[90:91]                      // 000000008730: D3B14006 1802B506
	v_pk_mul_f32 v[4:5], v[4:5], s[60:61]                      // 000000008738: D3B14004 18007904
	v_pk_mul_f32 v[6:7], v[6:7], s[60:61]                      // 000000008740: D3B14006 18007906
	v_exp_f32_e32 v4, v4                                       // 000000008748: 7E084104
	v_exp_f32_e32 v5, v5                                       // 00000000874C: 7E0A4105
	v_exp_f32_e32 v6, v6                                       // 000000008750: 7E0C4106
	v_exp_f32_e32 v7, v7                                       // 000000008754: 7E0E4107
	v_add_f32_e64 v4, v4, 1.0                                  // 000000008758: D1010004 0001E504
	v_add_f32_e64 v5, v5, 1.0                                  // 000000008760: D1010005 0001E505
	v_add_f32_e64 v6, v6, 1.0                                  // 000000008768: D1010006 0001E506
	v_add_f32_e64 v7, v7, 1.0                                  // 000000008770: D1010007 0001E507
	v_rcp_f32_e32 v4, v4                                       // 000000008778: 7E084504
	v_rcp_f32_e32 v5, v5                                       // 00000000877C: 7E0A4505
	v_rcp_f32_e32 v6, v6                                       // 000000008780: 7E0C4506
	v_rcp_f32_e32 v7, v7                                       // 000000008784: 7E0E4507
	v_mul_f32_e32 v88, v88, v4                                 // 000000008788: 0AB00958
	v_mul_f32_e32 v89, v89, v5                                 // 00000000878C: 0AB20B59
	v_mul_f32_e32 v90, v90, v6                                 // 000000008790: 0AB40D5A
	v_mul_f32_e32 v91, v91, v7                                 // 000000008794: 0AB60F5B
	v_mul_f32_e32 v88, v88, v136                               // 000000008798: 0AB11158
	v_mul_f32_e32 v89, v89, v137                               // 00000000879C: 0AB31359
	v_mul_f32_e32 v90, v90, v138                               // 0000000087A0: 0AB5155A
	v_mul_f32_e32 v91, v91, v139                               // 0000000087A4: 0AB7175B
	v_pk_mul_f32 v[4:5], v[92:93], v[92:93]                    // 0000000087A8: D3B14004 1802B95C
	v_pk_mul_f32 v[6:7], v[94:95], v[94:95]                    // 0000000087B0: D3B14006 1802BD5E
	v_pk_fma_f32 v[4:5], v[4:5], s[78:79], v[8:9]              // 0000000087B8: D3B04004 1C209D04
	v_pk_fma_f32 v[6:7], v[6:7], s[78:79], v[8:9]              // 0000000087C0: D3B04006 1C209D06
	v_pk_mul_f32 v[4:5], v[4:5], v[92:93]                      // 0000000087C8: D3B14004 1802B904
	v_pk_mul_f32 v[6:7], v[6:7], v[94:95]                      // 0000000087D0: D3B14006 1802BD06
	v_pk_mul_f32 v[4:5], v[4:5], s[60:61]                      // 0000000087D8: D3B14004 18007904
	v_pk_mul_f32 v[6:7], v[6:7], s[60:61]                      // 0000000087E0: D3B14006 18007906
	v_exp_f32_e32 v4, v4                                       // 0000000087E8: 7E084104
	v_exp_f32_e32 v5, v5                                       // 0000000087EC: 7E0A4105
	v_exp_f32_e32 v6, v6                                       // 0000000087F0: 7E0C4106
	v_exp_f32_e32 v7, v7                                       // 0000000087F4: 7E0E4107
	v_add_f32_e64 v4, v4, 1.0                                  // 0000000087F8: D1010004 0001E504
	v_add_f32_e64 v5, v5, 1.0                                  // 000000008800: D1010005 0001E505
	v_add_f32_e64 v6, v6, 1.0                                  // 000000008808: D1010006 0001E506
	v_add_f32_e64 v7, v7, 1.0                                  // 000000008810: D1010007 0001E507
	v_rcp_f32_e32 v4, v4                                       // 000000008818: 7E084504
	v_rcp_f32_e32 v5, v5                                       // 00000000881C: 7E0A4505
	v_rcp_f32_e32 v6, v6                                       // 000000008820: 7E0C4506
	v_rcp_f32_e32 v7, v7                                       // 000000008824: 7E0E4507
	v_mul_f32_e32 v92, v92, v4                                 // 000000008828: 0AB8095C
	v_mul_f32_e32 v93, v93, v5                                 // 00000000882C: 0ABA0B5D
	v_mul_f32_e32 v94, v94, v6                                 // 000000008830: 0ABC0D5E
	v_mul_f32_e32 v95, v95, v7                                 // 000000008834: 0ABE0F5F
	v_mul_f32_e32 v92, v92, v140                               // 000000008838: 0AB9195C
	v_mul_f32_e32 v93, v93, v141                               // 00000000883C: 0ABB1B5D
	v_mul_f32_e32 v94, v94, v142                               // 000000008840: 0ABD1D5E
	v_mul_f32_e32 v95, v95, v143                               // 000000008844: 0ABF1F5F
	v_pk_mul_f32 v[4:5], v[96:97], v[96:97]                    // 000000008848: D3B14004 1802C160
	v_pk_mul_f32 v[6:7], v[98:99], v[98:99]                    // 000000008850: D3B14006 1802C562
	v_pk_fma_f32 v[4:5], v[4:5], s[78:79], v[8:9]              // 000000008858: D3B04004 1C209D04
	v_pk_fma_f32 v[6:7], v[6:7], s[78:79], v[8:9]              // 000000008860: D3B04006 1C209D06
	v_pk_mul_f32 v[4:5], v[4:5], v[96:97]                      // 000000008868: D3B14004 1802C104
	v_pk_mul_f32 v[6:7], v[6:7], v[98:99]                      // 000000008870: D3B14006 1802C506
	v_pk_mul_f32 v[4:5], v[4:5], s[60:61]                      // 000000008878: D3B14004 18007904
	v_pk_mul_f32 v[6:7], v[6:7], s[60:61]                      // 000000008880: D3B14006 18007906
	v_exp_f32_e32 v4, v4                                       // 000000008888: 7E084104
	v_exp_f32_e32 v5, v5                                       // 00000000888C: 7E0A4105
	v_exp_f32_e32 v6, v6                                       // 000000008890: 7E0C4106
	v_exp_f32_e32 v7, v7                                       // 000000008894: 7E0E4107
	v_add_f32_e64 v4, v4, 1.0                                  // 000000008898: D1010004 0001E504
	v_add_f32_e64 v5, v5, 1.0                                  // 0000000088A0: D1010005 0001E505
	v_add_f32_e64 v6, v6, 1.0                                  // 0000000088A8: D1010006 0001E506
	v_add_f32_e64 v7, v7, 1.0                                  // 0000000088B0: D1010007 0001E507
	v_rcp_f32_e32 v4, v4                                       // 0000000088B8: 7E084504
	v_rcp_f32_e32 v5, v5                                       // 0000000088BC: 7E0A4505
	v_rcp_f32_e32 v6, v6                                       // 0000000088C0: 7E0C4506
	v_rcp_f32_e32 v7, v7                                       // 0000000088C4: 7E0E4507
	v_mul_f32_e32 v96, v96, v4                                 // 0000000088C8: 0AC00960
	v_mul_f32_e32 v97, v97, v5                                 // 0000000088CC: 0AC20B61
	v_mul_f32_e32 v98, v98, v6                                 // 0000000088D0: 0AC40D62
	v_mul_f32_e32 v99, v99, v7                                 // 0000000088D4: 0AC60F63
	v_mul_f32_e32 v96, v96, v144                               // 0000000088D8: 0AC12160
	v_mul_f32_e32 v97, v97, v145                               // 0000000088DC: 0AC32361
	v_mul_f32_e32 v98, v98, v146                               // 0000000088E0: 0AC52562
	v_mul_f32_e32 v99, v99, v147                               // 0000000088E4: 0AC72763
	s_branch label_193E                                        // 0000000088E8: BF820180

00000000000088ec <label_17BE>:
	v_mul_f32_e64 v4, -v52, s6                                 // 0000000088EC: D1050004 20000D34
	v_mul_f32_e64 v5, -v53, s6                                 // 0000000088F4: D1050005 20000D35
	v_mul_f32_e64 v6, -v54, s6                                 // 0000000088FC: D1050006 20000D36
	v_mul_f32_e64 v7, -v55, s6                                 // 000000008904: D1050007 20000D37
	v_exp_f32_e32 v4, v4                                       // 00000000890C: 7E084104
	v_exp_f32_e32 v5, v5                                       // 000000008910: 7E0A4105
	v_exp_f32_e32 v6, v6                                       // 000000008914: 7E0C4106
	v_exp_f32_e32 v7, v7                                       // 000000008918: 7E0E4107
	v_add_f32_e64 v4, v4, 1.0                                  // 00000000891C: D1010004 0001E504
	v_add_f32_e64 v5, v5, 1.0                                  // 000000008924: D1010005 0001E505
	v_add_f32_e64 v6, v6, 1.0                                  // 00000000892C: D1010006 0001E506
	v_add_f32_e64 v7, v7, 1.0                                  // 000000008934: D1010007 0001E507
	v_rcp_f32_e32 v4, v4                                       // 00000000893C: 7E084504
	v_rcp_f32_e32 v5, v5                                       // 000000008940: 7E0A4505
	v_rcp_f32_e32 v6, v6                                       // 000000008944: 7E0C4506
	v_rcp_f32_e32 v7, v7                                       // 000000008948: 7E0E4507
	v_mul_f32_e32 v52, v52, v4                                 // 00000000894C: 0A680934
	v_mul_f32_e32 v53, v53, v5                                 // 000000008950: 0A6A0B35
	v_mul_f32_e32 v54, v54, v6                                 // 000000008954: 0A6C0D36
	v_mul_f32_e32 v55, v55, v7                                 // 000000008958: 0A6E0F37
	v_mul_f32_e32 v52, v52, v100                               // 00000000895C: 0A68C934
	v_mul_f32_e32 v53, v53, v101                               // 000000008960: 0A6ACB35
	v_mul_f32_e32 v54, v54, v102                               // 000000008964: 0A6CCD36
	v_mul_f32_e32 v55, v55, v103                               // 000000008968: 0A6ECF37
	v_mul_f32_e64 v4, -v56, s6                                 // 00000000896C: D1050004 20000D38
	v_mul_f32_e64 v5, -v57, s6                                 // 000000008974: D1050005 20000D39
	v_mul_f32_e64 v6, -v58, s6                                 // 00000000897C: D1050006 20000D3A
	v_mul_f32_e64 v7, -v59, s6                                 // 000000008984: D1050007 20000D3B
	v_exp_f32_e32 v4, v4                                       // 00000000898C: 7E084104
	v_exp_f32_e32 v5, v5                                       // 000000008990: 7E0A4105
	v_exp_f32_e32 v6, v6                                       // 000000008994: 7E0C4106
	v_exp_f32_e32 v7, v7                                       // 000000008998: 7E0E4107
	v_add_f32_e64 v4, v4, 1.0                                  // 00000000899C: D1010004 0001E504
	v_add_f32_e64 v5, v5, 1.0                                  // 0000000089A4: D1010005 0001E505
	v_add_f32_e64 v6, v6, 1.0                                  // 0000000089AC: D1010006 0001E506
	v_add_f32_e64 v7, v7, 1.0                                  // 0000000089B4: D1010007 0001E507
	v_rcp_f32_e32 v4, v4                                       // 0000000089BC: 7E084504
	v_rcp_f32_e32 v5, v5                                       // 0000000089C0: 7E0A4505
	v_rcp_f32_e32 v6, v6                                       // 0000000089C4: 7E0C4506
	v_rcp_f32_e32 v7, v7                                       // 0000000089C8: 7E0E4507
	v_mul_f32_e32 v56, v56, v4                                 // 0000000089CC: 0A700938
	v_mul_f32_e32 v57, v57, v5                                 // 0000000089D0: 0A720B39
	v_mul_f32_e32 v58, v58, v6                                 // 0000000089D4: 0A740D3A
	v_mul_f32_e32 v59, v59, v7                                 // 0000000089D8: 0A760F3B
	v_mul_f32_e32 v56, v56, v104                               // 0000000089DC: 0A70D138
	v_mul_f32_e32 v57, v57, v105                               // 0000000089E0: 0A72D339
	v_mul_f32_e32 v58, v58, v106                               // 0000000089E4: 0A74D53A
	v_mul_f32_e32 v59, v59, v107                               // 0000000089E8: 0A76D73B
	v_mul_f32_e64 v4, -v60, s6                                 // 0000000089EC: D1050004 20000D3C
	v_mul_f32_e64 v5, -v61, s6                                 // 0000000089F4: D1050005 20000D3D
	v_mul_f32_e64 v6, -v62, s6                                 // 0000000089FC: D1050006 20000D3E
	v_mul_f32_e64 v7, -v63, s6                                 // 000000008A04: D1050007 20000D3F
	v_exp_f32_e32 v4, v4                                       // 000000008A0C: 7E084104
	v_exp_f32_e32 v5, v5                                       // 000000008A10: 7E0A4105
	v_exp_f32_e32 v6, v6                                       // 000000008A14: 7E0C4106
	v_exp_f32_e32 v7, v7                                       // 000000008A18: 7E0E4107
	v_add_f32_e64 v4, v4, 1.0                                  // 000000008A1C: D1010004 0001E504
	v_add_f32_e64 v5, v5, 1.0                                  // 000000008A24: D1010005 0001E505
	v_add_f32_e64 v6, v6, 1.0                                  // 000000008A2C: D1010006 0001E506
	v_add_f32_e64 v7, v7, 1.0                                  // 000000008A34: D1010007 0001E507
	v_rcp_f32_e32 v4, v4                                       // 000000008A3C: 7E084504
	v_rcp_f32_e32 v5, v5                                       // 000000008A40: 7E0A4505
	v_rcp_f32_e32 v6, v6                                       // 000000008A44: 7E0C4506
	v_rcp_f32_e32 v7, v7                                       // 000000008A48: 7E0E4507
	v_mul_f32_e32 v60, v60, v4                                 // 000000008A4C: 0A78093C
	v_mul_f32_e32 v61, v61, v5                                 // 000000008A50: 0A7A0B3D
	v_mul_f32_e32 v62, v62, v6                                 // 000000008A54: 0A7C0D3E
	v_mul_f32_e32 v63, v63, v7                                 // 000000008A58: 0A7E0F3F
	v_mul_f32_e32 v60, v60, v108                               // 000000008A5C: 0A78D93C
	v_mul_f32_e32 v61, v61, v109                               // 000000008A60: 0A7ADB3D
	v_mul_f32_e32 v62, v62, v110                               // 000000008A64: 0A7CDD3E
	v_mul_f32_e32 v63, v63, v111                               // 000000008A68: 0A7EDF3F
	v_mul_f32_e64 v4, -v64, s6                                 // 000000008A6C: D1050004 20000D40
	v_mul_f32_e64 v5, -v65, s6                                 // 000000008A74: D1050005 20000D41
	v_mul_f32_e64 v6, -v66, s6                                 // 000000008A7C: D1050006 20000D42
	v_mul_f32_e64 v7, -v67, s6                                 // 000000008A84: D1050007 20000D43
	v_exp_f32_e32 v4, v4                                       // 000000008A8C: 7E084104
	v_exp_f32_e32 v5, v5                                       // 000000008A90: 7E0A4105
	v_exp_f32_e32 v6, v6                                       // 000000008A94: 7E0C4106
	v_exp_f32_e32 v7, v7                                       // 000000008A98: 7E0E4107
	v_add_f32_e64 v4, v4, 1.0                                  // 000000008A9C: D1010004 0001E504
	v_add_f32_e64 v5, v5, 1.0                                  // 000000008AA4: D1010005 0001E505
	v_add_f32_e64 v6, v6, 1.0                                  // 000000008AAC: D1010006 0001E506
	v_add_f32_e64 v7, v7, 1.0                                  // 000000008AB4: D1010007 0001E507
	v_rcp_f32_e32 v4, v4                                       // 000000008ABC: 7E084504
	v_rcp_f32_e32 v5, v5                                       // 000000008AC0: 7E0A4505
	v_rcp_f32_e32 v6, v6                                       // 000000008AC4: 7E0C4506
	v_rcp_f32_e32 v7, v7                                       // 000000008AC8: 7E0E4507
	v_mul_f32_e32 v64, v64, v4                                 // 000000008ACC: 0A800940
	v_mul_f32_e32 v65, v65, v5                                 // 000000008AD0: 0A820B41
	v_mul_f32_e32 v66, v66, v6                                 // 000000008AD4: 0A840D42
	v_mul_f32_e32 v67, v67, v7                                 // 000000008AD8: 0A860F43
	v_mul_f32_e32 v64, v64, v112                               // 000000008ADC: 0A80E140
	v_mul_f32_e32 v65, v65, v113                               // 000000008AE0: 0A82E341
	v_mul_f32_e32 v66, v66, v114                               // 000000008AE4: 0A84E542
	v_mul_f32_e32 v67, v67, v115                               // 000000008AE8: 0A86E743
	v_mul_f32_e64 v4, -v68, s6                                 // 000000008AEC: D1050004 20000D44
	v_mul_f32_e64 v5, -v69, s6                                 // 000000008AF4: D1050005 20000D45
	v_mul_f32_e64 v6, -v70, s6                                 // 000000008AFC: D1050006 20000D46
	v_mul_f32_e64 v7, -v71, s6                                 // 000000008B04: D1050007 20000D47
	v_exp_f32_e32 v4, v4                                       // 000000008B0C: 7E084104
	v_exp_f32_e32 v5, v5                                       // 000000008B10: 7E0A4105
	v_exp_f32_e32 v6, v6                                       // 000000008B14: 7E0C4106
	v_exp_f32_e32 v7, v7                                       // 000000008B18: 7E0E4107
	v_add_f32_e64 v4, v4, 1.0                                  // 000000008B1C: D1010004 0001E504
	v_add_f32_e64 v5, v5, 1.0                                  // 000000008B24: D1010005 0001E505
	v_add_f32_e64 v6, v6, 1.0                                  // 000000008B2C: D1010006 0001E506
	v_add_f32_e64 v7, v7, 1.0                                  // 000000008B34: D1010007 0001E507
	v_rcp_f32_e32 v4, v4                                       // 000000008B3C: 7E084504
	v_rcp_f32_e32 v5, v5                                       // 000000008B40: 7E0A4505
	v_rcp_f32_e32 v6, v6                                       // 000000008B44: 7E0C4506
	v_rcp_f32_e32 v7, v7                                       // 000000008B48: 7E0E4507
	v_mul_f32_e32 v68, v68, v4                                 // 000000008B4C: 0A880944
	v_mul_f32_e32 v69, v69, v5                                 // 000000008B50: 0A8A0B45
	v_mul_f32_e32 v70, v70, v6                                 // 000000008B54: 0A8C0D46
	v_mul_f32_e32 v71, v71, v7                                 // 000000008B58: 0A8E0F47
	v_mul_f32_e32 v68, v68, v116                               // 000000008B5C: 0A88E944
	v_mul_f32_e32 v69, v69, v117                               // 000000008B60: 0A8AEB45
	v_mul_f32_e32 v70, v70, v118                               // 000000008B64: 0A8CED46
	v_mul_f32_e32 v71, v71, v119                               // 000000008B68: 0A8EEF47
	v_mul_f32_e64 v4, -v72, s6                                 // 000000008B6C: D1050004 20000D48
	v_mul_f32_e64 v5, -v73, s6                                 // 000000008B74: D1050005 20000D49
	v_mul_f32_e64 v6, -v74, s6                                 // 000000008B7C: D1050006 20000D4A
	v_mul_f32_e64 v7, -v75, s6                                 // 000000008B84: D1050007 20000D4B
	v_exp_f32_e32 v4, v4                                       // 000000008B8C: 7E084104
	v_exp_f32_e32 v5, v5                                       // 000000008B90: 7E0A4105
	v_exp_f32_e32 v6, v6                                       // 000000008B94: 7E0C4106
	v_exp_f32_e32 v7, v7                                       // 000000008B98: 7E0E4107
	v_add_f32_e64 v4, v4, 1.0                                  // 000000008B9C: D1010004 0001E504
	v_add_f32_e64 v5, v5, 1.0                                  // 000000008BA4: D1010005 0001E505
	v_add_f32_e64 v6, v6, 1.0                                  // 000000008BAC: D1010006 0001E506
	v_add_f32_e64 v7, v7, 1.0                                  // 000000008BB4: D1010007 0001E507
	v_rcp_f32_e32 v4, v4                                       // 000000008BBC: 7E084504
	v_rcp_f32_e32 v5, v5                                       // 000000008BC0: 7E0A4505
	v_rcp_f32_e32 v6, v6                                       // 000000008BC4: 7E0C4506
	v_rcp_f32_e32 v7, v7                                       // 000000008BC8: 7E0E4507
	v_mul_f32_e32 v72, v72, v4                                 // 000000008BCC: 0A900948
	v_mul_f32_e32 v73, v73, v5                                 // 000000008BD0: 0A920B49
	v_mul_f32_e32 v74, v74, v6                                 // 000000008BD4: 0A940D4A
	v_mul_f32_e32 v75, v75, v7                                 // 000000008BD8: 0A960F4B
	v_mul_f32_e32 v72, v72, v120                               // 000000008BDC: 0A90F148
	v_mul_f32_e32 v73, v73, v121                               // 000000008BE0: 0A92F349
	v_mul_f32_e32 v74, v74, v122                               // 000000008BE4: 0A94F54A
	v_mul_f32_e32 v75, v75, v123                               // 000000008BE8: 0A96F74B
	v_mul_f32_e64 v4, -v76, s6                                 // 000000008BEC: D1050004 20000D4C
	v_mul_f32_e64 v5, -v77, s6                                 // 000000008BF4: D1050005 20000D4D
	v_mul_f32_e64 v6, -v78, s6                                 // 000000008BFC: D1050006 20000D4E
	v_mul_f32_e64 v7, -v79, s6                                 // 000000008C04: D1050007 20000D4F
	v_exp_f32_e32 v4, v4                                       // 000000008C0C: 7E084104
	v_exp_f32_e32 v5, v5                                       // 000000008C10: 7E0A4105
	v_exp_f32_e32 v6, v6                                       // 000000008C14: 7E0C4106
	v_exp_f32_e32 v7, v7                                       // 000000008C18: 7E0E4107
	v_add_f32_e64 v4, v4, 1.0                                  // 000000008C1C: D1010004 0001E504
	v_add_f32_e64 v5, v5, 1.0                                  // 000000008C24: D1010005 0001E505
	v_add_f32_e64 v6, v6, 1.0                                  // 000000008C2C: D1010006 0001E506
	v_add_f32_e64 v7, v7, 1.0                                  // 000000008C34: D1010007 0001E507
	v_rcp_f32_e32 v4, v4                                       // 000000008C3C: 7E084504
	v_rcp_f32_e32 v5, v5                                       // 000000008C40: 7E0A4505
	v_rcp_f32_e32 v6, v6                                       // 000000008C44: 7E0C4506
	v_rcp_f32_e32 v7, v7                                       // 000000008C48: 7E0E4507
	v_mul_f32_e32 v76, v76, v4                                 // 000000008C4C: 0A98094C
	v_mul_f32_e32 v77, v77, v5                                 // 000000008C50: 0A9A0B4D
	v_mul_f32_e32 v78, v78, v6                                 // 000000008C54: 0A9C0D4E
	v_mul_f32_e32 v79, v79, v7                                 // 000000008C58: 0A9E0F4F
	v_mul_f32_e32 v76, v76, v124                               // 000000008C5C: 0A98F94C
	v_mul_f32_e32 v77, v77, v125                               // 000000008C60: 0A9AFB4D
	v_mul_f32_e32 v78, v78, v126                               // 000000008C64: 0A9CFD4E
	v_mul_f32_e32 v79, v79, v127                               // 000000008C68: 0A9EFF4F
	v_mul_f32_e64 v4, -v80, s6                                 // 000000008C6C: D1050004 20000D50
	v_mul_f32_e64 v5, -v81, s6                                 // 000000008C74: D1050005 20000D51
	v_mul_f32_e64 v6, -v82, s6                                 // 000000008C7C: D1050006 20000D52
	v_mul_f32_e64 v7, -v83, s6                                 // 000000008C84: D1050007 20000D53
	v_exp_f32_e32 v4, v4                                       // 000000008C8C: 7E084104
	v_exp_f32_e32 v5, v5                                       // 000000008C90: 7E0A4105
	v_exp_f32_e32 v6, v6                                       // 000000008C94: 7E0C4106
	v_exp_f32_e32 v7, v7                                       // 000000008C98: 7E0E4107
	v_add_f32_e64 v4, v4, 1.0                                  // 000000008C9C: D1010004 0001E504
	v_add_f32_e64 v5, v5, 1.0                                  // 000000008CA4: D1010005 0001E505
	v_add_f32_e64 v6, v6, 1.0                                  // 000000008CAC: D1010006 0001E506
	v_add_f32_e64 v7, v7, 1.0                                  // 000000008CB4: D1010007 0001E507
	v_rcp_f32_e32 v4, v4                                       // 000000008CBC: 7E084504
	v_rcp_f32_e32 v5, v5                                       // 000000008CC0: 7E0A4505
	v_rcp_f32_e32 v6, v6                                       // 000000008CC4: 7E0C4506
	v_rcp_f32_e32 v7, v7                                       // 000000008CC8: 7E0E4507
	v_mul_f32_e32 v80, v80, v4                                 // 000000008CCC: 0AA00950
	v_mul_f32_e32 v81, v81, v5                                 // 000000008CD0: 0AA20B51
	v_mul_f32_e32 v82, v82, v6                                 // 000000008CD4: 0AA40D52
	v_mul_f32_e32 v83, v83, v7                                 // 000000008CD8: 0AA60F53
	v_mul_f32_e32 v80, v80, v128                               // 000000008CDC: 0AA10150
	v_mul_f32_e32 v81, v81, v129                               // 000000008CE0: 0AA30351
	v_mul_f32_e32 v82, v82, v130                               // 000000008CE4: 0AA50552
	v_mul_f32_e32 v83, v83, v131                               // 000000008CE8: 0AA70753
	v_mul_f32_e64 v4, -v84, s6                                 // 000000008CEC: D1050004 20000D54
	v_mul_f32_e64 v5, -v85, s6                                 // 000000008CF4: D1050005 20000D55
	v_mul_f32_e64 v6, -v86, s6                                 // 000000008CFC: D1050006 20000D56
	v_mul_f32_e64 v7, -v87, s6                                 // 000000008D04: D1050007 20000D57
	v_exp_f32_e32 v4, v4                                       // 000000008D0C: 7E084104
	v_exp_f32_e32 v5, v5                                       // 000000008D10: 7E0A4105
	v_exp_f32_e32 v6, v6                                       // 000000008D14: 7E0C4106
	v_exp_f32_e32 v7, v7                                       // 000000008D18: 7E0E4107
	v_add_f32_e64 v4, v4, 1.0                                  // 000000008D1C: D1010004 0001E504
	v_add_f32_e64 v5, v5, 1.0                                  // 000000008D24: D1010005 0001E505
	v_add_f32_e64 v6, v6, 1.0                                  // 000000008D2C: D1010006 0001E506
	v_add_f32_e64 v7, v7, 1.0                                  // 000000008D34: D1010007 0001E507
	v_rcp_f32_e32 v4, v4                                       // 000000008D3C: 7E084504
	v_rcp_f32_e32 v5, v5                                       // 000000008D40: 7E0A4505
	v_rcp_f32_e32 v6, v6                                       // 000000008D44: 7E0C4506
	v_rcp_f32_e32 v7, v7                                       // 000000008D48: 7E0E4507
	v_mul_f32_e32 v84, v84, v4                                 // 000000008D4C: 0AA80954
	v_mul_f32_e32 v85, v85, v5                                 // 000000008D50: 0AAA0B55
	v_mul_f32_e32 v86, v86, v6                                 // 000000008D54: 0AAC0D56
	v_mul_f32_e32 v87, v87, v7                                 // 000000008D58: 0AAE0F57
	v_mul_f32_e32 v84, v84, v132                               // 000000008D5C: 0AA90954
	v_mul_f32_e32 v85, v85, v133                               // 000000008D60: 0AAB0B55
	v_mul_f32_e32 v86, v86, v134                               // 000000008D64: 0AAD0D56
	v_mul_f32_e32 v87, v87, v135                               // 000000008D68: 0AAF0F57
	v_mul_f32_e64 v4, -v88, s6                                 // 000000008D6C: D1050004 20000D58
	v_mul_f32_e64 v5, -v89, s6                                 // 000000008D74: D1050005 20000D59
	v_mul_f32_e64 v6, -v90, s6                                 // 000000008D7C: D1050006 20000D5A
	v_mul_f32_e64 v7, -v91, s6                                 // 000000008D84: D1050007 20000D5B
	v_exp_f32_e32 v4, v4                                       // 000000008D8C: 7E084104
	v_exp_f32_e32 v5, v5                                       // 000000008D90: 7E0A4105
	v_exp_f32_e32 v6, v6                                       // 000000008D94: 7E0C4106
	v_exp_f32_e32 v7, v7                                       // 000000008D98: 7E0E4107
	v_add_f32_e64 v4, v4, 1.0                                  // 000000008D9C: D1010004 0001E504
	v_add_f32_e64 v5, v5, 1.0                                  // 000000008DA4: D1010005 0001E505
	v_add_f32_e64 v6, v6, 1.0                                  // 000000008DAC: D1010006 0001E506
	v_add_f32_e64 v7, v7, 1.0                                  // 000000008DB4: D1010007 0001E507
	v_rcp_f32_e32 v4, v4                                       // 000000008DBC: 7E084504
	v_rcp_f32_e32 v5, v5                                       // 000000008DC0: 7E0A4505
	v_rcp_f32_e32 v6, v6                                       // 000000008DC4: 7E0C4506
	v_rcp_f32_e32 v7, v7                                       // 000000008DC8: 7E0E4507
	v_mul_f32_e32 v88, v88, v4                                 // 000000008DCC: 0AB00958
	v_mul_f32_e32 v89, v89, v5                                 // 000000008DD0: 0AB20B59
	v_mul_f32_e32 v90, v90, v6                                 // 000000008DD4: 0AB40D5A
	v_mul_f32_e32 v91, v91, v7                                 // 000000008DD8: 0AB60F5B
	v_mul_f32_e32 v88, v88, v136                               // 000000008DDC: 0AB11158
	v_mul_f32_e32 v89, v89, v137                               // 000000008DE0: 0AB31359
	v_mul_f32_e32 v90, v90, v138                               // 000000008DE4: 0AB5155A
	v_mul_f32_e32 v91, v91, v139                               // 000000008DE8: 0AB7175B
	v_mul_f32_e64 v4, -v92, s6                                 // 000000008DEC: D1050004 20000D5C
	v_mul_f32_e64 v5, -v93, s6                                 // 000000008DF4: D1050005 20000D5D
	v_mul_f32_e64 v6, -v94, s6                                 // 000000008DFC: D1050006 20000D5E
	v_mul_f32_e64 v7, -v95, s6                                 // 000000008E04: D1050007 20000D5F
	v_exp_f32_e32 v4, v4                                       // 000000008E0C: 7E084104
	v_exp_f32_e32 v5, v5                                       // 000000008E10: 7E0A4105
	v_exp_f32_e32 v6, v6                                       // 000000008E14: 7E0C4106
	v_exp_f32_e32 v7, v7                                       // 000000008E18: 7E0E4107
	v_add_f32_e64 v4, v4, 1.0                                  // 000000008E1C: D1010004 0001E504
	v_add_f32_e64 v5, v5, 1.0                                  // 000000008E24: D1010005 0001E505
	v_add_f32_e64 v6, v6, 1.0                                  // 000000008E2C: D1010006 0001E506
	v_add_f32_e64 v7, v7, 1.0                                  // 000000008E34: D1010007 0001E507
	v_rcp_f32_e32 v4, v4                                       // 000000008E3C: 7E084504
	v_rcp_f32_e32 v5, v5                                       // 000000008E40: 7E0A4505
	v_rcp_f32_e32 v6, v6                                       // 000000008E44: 7E0C4506
	v_rcp_f32_e32 v7, v7                                       // 000000008E48: 7E0E4507
	v_mul_f32_e32 v92, v92, v4                                 // 000000008E4C: 0AB8095C
	v_mul_f32_e32 v93, v93, v5                                 // 000000008E50: 0ABA0B5D
	v_mul_f32_e32 v94, v94, v6                                 // 000000008E54: 0ABC0D5E
	v_mul_f32_e32 v95, v95, v7                                 // 000000008E58: 0ABE0F5F
	v_mul_f32_e32 v92, v92, v140                               // 000000008E5C: 0AB9195C
	v_mul_f32_e32 v93, v93, v141                               // 000000008E60: 0ABB1B5D
	v_mul_f32_e32 v94, v94, v142                               // 000000008E64: 0ABD1D5E
	v_mul_f32_e32 v95, v95, v143                               // 000000008E68: 0ABF1F5F
	v_mul_f32_e64 v4, -v96, s6                                 // 000000008E6C: D1050004 20000D60
	v_mul_f32_e64 v5, -v97, s6                                 // 000000008E74: D1050005 20000D61
	v_mul_f32_e64 v6, -v98, s6                                 // 000000008E7C: D1050006 20000D62
	v_mul_f32_e64 v7, -v99, s6                                 // 000000008E84: D1050007 20000D63
	v_exp_f32_e32 v4, v4                                       // 000000008E8C: 7E084104
	v_exp_f32_e32 v5, v5                                       // 000000008E90: 7E0A4105
	v_exp_f32_e32 v6, v6                                       // 000000008E94: 7E0C4106
	v_exp_f32_e32 v7, v7                                       // 000000008E98: 7E0E4107
	v_add_f32_e64 v4, v4, 1.0                                  // 000000008E9C: D1010004 0001E504
	v_add_f32_e64 v5, v5, 1.0                                  // 000000008EA4: D1010005 0001E505
	v_add_f32_e64 v6, v6, 1.0                                  // 000000008EAC: D1010006 0001E506
	v_add_f32_e64 v7, v7, 1.0                                  // 000000008EB4: D1010007 0001E507
	v_rcp_f32_e32 v4, v4                                       // 000000008EBC: 7E084504
	v_rcp_f32_e32 v5, v5                                       // 000000008EC0: 7E0A4505
	v_rcp_f32_e32 v6, v6                                       // 000000008EC4: 7E0C4506
	v_rcp_f32_e32 v7, v7                                       // 000000008EC8: 7E0E4507
	v_mul_f32_e32 v96, v96, v4                                 // 000000008ECC: 0AC00960
	v_mul_f32_e32 v97, v97, v5                                 // 000000008ED0: 0AC20B61
	v_mul_f32_e32 v98, v98, v6                                 // 000000008ED4: 0AC40D62
	v_mul_f32_e32 v99, v99, v7                                 // 000000008ED8: 0AC60F63
	v_mul_f32_e32 v96, v96, v144                               // 000000008EDC: 0AC12160
	v_mul_f32_e32 v97, v97, v145                               // 000000008EE0: 0AC32361
	v_mul_f32_e32 v98, v98, v146                               // 000000008EE4: 0AC52562
	v_mul_f32_e32 v99, v99, v147                               // 000000008EE8: 0AC72763

0000000000008eec <label_193E>:
	s_cmp_eq_u32 s7, 0                                         // 000000008EEC: BF068007
	s_cbranch_scc0 label_194B                                  // 000000008EF0: BF84000B
	v_and_b32_e32 v4, 15, v0                                   // 000000008EF4: 2608008F
	v_lshlrev_b32_e32 v4, 2, v4                                // 000000008EF8: 24080882
	buffer_load_dword v28, v4, s[12:15], 0 offen               // 000000008EFC: E0501000 80031C04
	v_add_u32_e32 v4, 64, v4                                   // 000000008F04: 680808C0
	buffer_load_dword v29, v4, s[12:15], 0 offen               // 000000008F08: E0501000 80031D04
	v_add_u32_e32 v4, 64, v4                                   // 000000008F10: 680808C0
	buffer_load_dword v30, v4, s[12:15], 0 offen               // 000000008F14: E0501000 80031E04
	v_add_u32_e32 v4, 64, v4                                   // 000000008F1C: 680808C0

0000000000008f20 <label_194B>:
	v_lshlrev_b32_e32 v4, 2, v0                                // 000000008F20: 24080082
	s_mul_i32 s60, 0x100, s7                                   // 000000008F24: 923C07FF 00000100
	v_add_u32_e32 v106, s60, v4                                // 000000008F2C: 68D4083C
	v_and_b32_e32 v4, 15, v0                                   // 000000008F30: 2608008F
	v_lshlrev_b32_e32 v107, 2, v4                              // 000000008F34: 24D60882
	s_waitcnt lgkmcnt(0)                                       // 000000008F38: BF8CC07F
	s_barrier                                                  // 000000008F3C: BF8A0000
	v_mov_b32_e32 v100, 0x358637bd                             // 000000008F40: 7EC802FF 358637BD
	v_max3_f32 v100, |v52|, |v53|, v100                        // 000000008F48: D1D30364 05926B34
	v_max3_f32 v100, |v54|, |v55|, v100                        // 000000008F50: D1D30364 05926F36
	v_max3_f32 v100, |v64|, |v65|, v100                        // 000000008F58: D1D30364 05928340
	v_max3_f32 v100, |v66|, |v67|, v100                        // 000000008F60: D1D30364 05928742
	ds_write_b32 v106, v100                                    // 000000008F68: D81A0000 0000646A
	s_waitcnt lgkmcnt(0)                                       // 000000008F70: BF8CC07F
	s_barrier                                                  // 000000008F74: BF8A0000
	ds_read_b32 v4, v107                                       // 000000008F78: D86C0000 0400006B
	ds_read_b32 v5, v107 offset:64                             // 000000008F80: D86C0040 0500006B
	ds_read_b32 v6, v107 offset:128                            // 000000008F88: D86C0080 0600006B
	ds_read_b32 v7, v107 offset:192                            // 000000008F90: D86C00C0 0700006B
	ds_read_b32 v8, v107 offset:256                            // 000000008F98: D86C0100 0800006B
	ds_read_b32 v9, v107 offset:320                            // 000000008FA0: D86C0140 0900006B
	ds_read_b32 v10, v107 offset:384                           // 000000008FA8: D86C0180 0A00006B
	ds_read_b32 v11, v107 offset:448                           // 000000008FB0: D86C01C0 0B00006B
	ds_read_b32 v12, v107 offset:512                           // 000000008FB8: D86C0200 0C00006B
	ds_read_b32 v13, v107 offset:576                           // 000000008FC0: D86C0240 0D00006B
	ds_read_b32 v14, v107 offset:640                           // 000000008FC8: D86C0280 0E00006B
	ds_read_b32 v15, v107 offset:704                           // 000000008FD0: D86C02C0 0F00006B
	ds_read_b32 v16, v107 offset:768                           // 000000008FD8: D86C0300 1000006B
	ds_read_b32 v17, v107 offset:832                           // 000000008FE0: D86C0340 1100006B
	ds_read_b32 v18, v107 offset:896                           // 000000008FE8: D86C0380 1200006B
	ds_read_b32 v19, v107 offset:960                           // 000000008FF0: D86C03C0 1300006B
	s_waitcnt lgkmcnt(0)                                       // 000000008FF8: BF8CC07F
	s_barrier                                                  // 000000008FFC: BF8A0000
	v_max3_f32 v100, |v4|, |v5|, v100                          // 000000009000: D1D30364 05920B04
	v_max3_f32 v100, |v6|, |v7|, v100                          // 000000009008: D1D30364 05920F06
	v_max3_f32 v100, |v8|, |v9|, v100                          // 000000009010: D1D30364 05921308
	v_max3_f32 v100, |v10|, |v11|, v100                        // 000000009018: D1D30364 0592170A
	v_max3_f32 v100, |v12|, |v13|, v100                        // 000000009020: D1D30364 05921B0C
	v_max3_f32 v100, |v14|, |v15|, v100                        // 000000009028: D1D30364 05921F0E
	v_max3_f32 v100, |v16|, |v17|, v100                        // 000000009030: D1D30364 05922310
	v_max3_f32 v100, |v18|, |v19|, v100                        // 000000009038: D1D30364 05922712
	v_rcp_f32_e32 v100, v100                                   // 000000009040: 7EC84564
	v_mov_b32_e32 v4, 0x43700000                               // 000000009044: 7E0802FF 43700000
	v_mul_f32_e32 v100, v4, v100                               // 00000000904C: 0AC8C904
	v_mov_b32_e32 v4, v100                                     // 000000009050: 7E080364
	v_mov_b32_e32 v5, v4                                       // 000000009054: 7E0A0304
	v_pk_mul_f32 v[52:53], v[4:5], v[52:53]                    // 000000009058: D3B14034 18026904
	v_pk_mul_f32 v[54:55], v[4:5], v[54:55]                    // 000000009060: D3B14036 18026D04
	v_cvt_pk_fp8_f32 v52, v52, v53                             // 000000009068: D2A20034 00026B34
	v_cvt_pk_fp8_f32 v52, v54, v55 op_sel:[0,0,1]              // 000000009070: D2A24034 00026F36
	v_pk_mul_f32 v[64:65], v[4:5], v[64:65]                    // 000000009078: D3B14040 18028104
	v_pk_mul_f32 v[66:67], v[4:5], v[66:67]                    // 000000009080: D3B14042 18028504
	v_cvt_pk_fp8_f32 v64, v64, v65                             // 000000009088: D2A20040 00028340
	v_cvt_pk_fp8_f32 v64, v66, v67 op_sel:[0,0,1]              // 000000009090: D2A24040 00028742
	v_rcp_f32_e32 v100, v100                                   // 000000009098: 7EC84564
	v_mov_b32_e32 v103, 0x358637bd                             // 00000000909C: 7ECE02FF 358637BD
	v_max3_f32 v103, |v76|, |v77|, v103                        // 0000000090A4: D1D30367 059E9B4C
	v_max3_f32 v103, |v78|, |v79|, v103                        // 0000000090AC: D1D30367 059E9F4E
	v_max3_f32 v103, |v88|, |v89|, v103                        // 0000000090B4: D1D30367 059EB358
	v_max3_f32 v103, |v90|, |v91|, v103                        // 0000000090BC: D1D30367 059EB75A
	ds_write_b32 v106, v103                                    // 0000000090C4: D81A0000 0000676A
	s_waitcnt lgkmcnt(0)                                       // 0000000090CC: BF8CC07F
	s_barrier                                                  // 0000000090D0: BF8A0000
	ds_read_b32 v4, v107                                       // 0000000090D4: D86C0000 0400006B
	ds_read_b32 v5, v107 offset:64                             // 0000000090DC: D86C0040 0500006B
	ds_read_b32 v6, v107 offset:128                            // 0000000090E4: D86C0080 0600006B
	ds_read_b32 v7, v107 offset:192                            // 0000000090EC: D86C00C0 0700006B
	ds_read_b32 v8, v107 offset:256                            // 0000000090F4: D86C0100 0800006B
	ds_read_b32 v9, v107 offset:320                            // 0000000090FC: D86C0140 0900006B
	ds_read_b32 v10, v107 offset:384                           // 000000009104: D86C0180 0A00006B
	ds_read_b32 v11, v107 offset:448                           // 00000000910C: D86C01C0 0B00006B
	ds_read_b32 v12, v107 offset:512                           // 000000009114: D86C0200 0C00006B
	ds_read_b32 v13, v107 offset:576                           // 00000000911C: D86C0240 0D00006B
	ds_read_b32 v14, v107 offset:640                           // 000000009124: D86C0280 0E00006B
	ds_read_b32 v15, v107 offset:704                           // 00000000912C: D86C02C0 0F00006B
	ds_read_b32 v16, v107 offset:768                           // 000000009134: D86C0300 1000006B
	ds_read_b32 v17, v107 offset:832                           // 00000000913C: D86C0340 1100006B
	ds_read_b32 v18, v107 offset:896                           // 000000009144: D86C0380 1200006B
	ds_read_b32 v19, v107 offset:960                           // 00000000914C: D86C03C0 1300006B
	s_waitcnt lgkmcnt(0)                                       // 000000009154: BF8CC07F
	s_barrier                                                  // 000000009158: BF8A0000
	v_max3_f32 v103, |v4|, |v5|, v103                          // 00000000915C: D1D30367 059E0B04
	v_max3_f32 v103, |v6|, |v7|, v103                          // 000000009164: D1D30367 059E0F06
	v_max3_f32 v103, |v8|, |v9|, v103                          // 00000000916C: D1D30367 059E1308
	v_max3_f32 v103, |v10|, |v11|, v103                        // 000000009174: D1D30367 059E170A
	v_max3_f32 v103, |v12|, |v13|, v103                        // 00000000917C: D1D30367 059E1B0C
	v_max3_f32 v103, |v14|, |v15|, v103                        // 000000009184: D1D30367 059E1F0E
	v_max3_f32 v103, |v16|, |v17|, v103                        // 00000000918C: D1D30367 059E2310
	v_max3_f32 v103, |v18|, |v19|, v103                        // 000000009194: D1D30367 059E2712
	v_rcp_f32_e32 v103, v103                                   // 00000000919C: 7ECE4567
	v_mov_b32_e32 v4, 0x43700000                               // 0000000091A0: 7E0802FF 43700000
	v_mul_f32_e32 v103, v4, v103                               // 0000000091A8: 0ACECF04
	v_mov_b32_e32 v4, v103                                     // 0000000091AC: 7E080367
	v_mov_b32_e32 v5, v4                                       // 0000000091B0: 7E0A0304
	v_pk_mul_f32 v[76:77], v[4:5], v[76:77]                    // 0000000091B4: D3B1404C 18029904
	v_pk_mul_f32 v[78:79], v[4:5], v[78:79]                    // 0000000091BC: D3B1404E 18029D04
	v_cvt_pk_fp8_f32 v76, v76, v77                             // 0000000091C4: D2A2004C 00029B4C
	v_cvt_pk_fp8_f32 v76, v78, v79 op_sel:[0,0,1]              // 0000000091CC: D2A2404C 00029F4E
	v_pk_mul_f32 v[88:89], v[4:5], v[88:89]                    // 0000000091D4: D3B14058 1802B104
	v_pk_mul_f32 v[90:91], v[4:5], v[90:91]                    // 0000000091DC: D3B1405A 1802B504
	v_cvt_pk_fp8_f32 v88, v88, v89                             // 0000000091E4: D2A20058 0002B358
	v_cvt_pk_fp8_f32 v88, v90, v91 op_sel:[0,0,1]              // 0000000091EC: D2A24058 0002B75A
	v_rcp_f32_e32 v103, v103                                   // 0000000091F4: 7ECE4567
	v_mov_b32_e32 v101, 0x358637bd                             // 0000000091F8: 7ECA02FF 358637BD
	v_max3_f32 v101, |v56|, |v57|, v101                        // 000000009200: D1D30365 05967338
	v_max3_f32 v101, |v58|, |v59|, v101                        // 000000009208: D1D30365 0596773A
	v_max3_f32 v101, |v68|, |v69|, v101                        // 000000009210: D1D30365 05968B44
	v_max3_f32 v101, |v70|, |v71|, v101                        // 000000009218: D1D30365 05968F46
	ds_write_b32 v106, v101                                    // 000000009220: D81A0000 0000656A
	s_waitcnt lgkmcnt(0)                                       // 000000009228: BF8CC07F
	s_barrier                                                  // 00000000922C: BF8A0000
	ds_read_b32 v4, v107                                       // 000000009230: D86C0000 0400006B
	ds_read_b32 v5, v107 offset:64                             // 000000009238: D86C0040 0500006B
	ds_read_b32 v6, v107 offset:128                            // 000000009240: D86C0080 0600006B
	ds_read_b32 v7, v107 offset:192                            // 000000009248: D86C00C0 0700006B
	ds_read_b32 v8, v107 offset:256                            // 000000009250: D86C0100 0800006B
	ds_read_b32 v9, v107 offset:320                            // 000000009258: D86C0140 0900006B
	ds_read_b32 v10, v107 offset:384                           // 000000009260: D86C0180 0A00006B
	ds_read_b32 v11, v107 offset:448                           // 000000009268: D86C01C0 0B00006B
	ds_read_b32 v12, v107 offset:512                           // 000000009270: D86C0200 0C00006B
	ds_read_b32 v13, v107 offset:576                           // 000000009278: D86C0240 0D00006B
	ds_read_b32 v14, v107 offset:640                           // 000000009280: D86C0280 0E00006B
	ds_read_b32 v15, v107 offset:704                           // 000000009288: D86C02C0 0F00006B
	ds_read_b32 v16, v107 offset:768                           // 000000009290: D86C0300 1000006B
	ds_read_b32 v17, v107 offset:832                           // 000000009298: D86C0340 1100006B
	ds_read_b32 v18, v107 offset:896                           // 0000000092A0: D86C0380 1200006B
	ds_read_b32 v19, v107 offset:960                           // 0000000092A8: D86C03C0 1300006B
	s_waitcnt lgkmcnt(0)                                       // 0000000092B0: BF8CC07F
	s_barrier                                                  // 0000000092B4: BF8A0000
	v_max3_f32 v101, |v4|, |v5|, v101                          // 0000000092B8: D1D30365 05960B04
	v_max3_f32 v101, |v6|, |v7|, v101                          // 0000000092C0: D1D30365 05960F06
	v_max3_f32 v101, |v8|, |v9|, v101                          // 0000000092C8: D1D30365 05961308
	v_max3_f32 v101, |v10|, |v11|, v101                        // 0000000092D0: D1D30365 0596170A
	v_max3_f32 v101, |v12|, |v13|, v101                        // 0000000092D8: D1D30365 05961B0C
	v_max3_f32 v101, |v14|, |v15|, v101                        // 0000000092E0: D1D30365 05961F0E
	v_max3_f32 v101, |v16|, |v17|, v101                        // 0000000092E8: D1D30365 05962310
	v_max3_f32 v101, |v18|, |v19|, v101                        // 0000000092F0: D1D30365 05962712
	v_rcp_f32_e32 v101, v101                                   // 0000000092F8: 7ECA4565
	v_mov_b32_e32 v4, 0x43700000                               // 0000000092FC: 7E0802FF 43700000
	v_mul_f32_e32 v101, v4, v101                               // 000000009304: 0ACACB04
	v_mov_b32_e32 v4, v101                                     // 000000009308: 7E080365
	v_mov_b32_e32 v5, v4                                       // 00000000930C: 7E0A0304
	v_pk_mul_f32 v[56:57], v[4:5], v[56:57]                    // 000000009310: D3B14038 18027104
	v_pk_mul_f32 v[58:59], v[4:5], v[58:59]                    // 000000009318: D3B1403A 18027504
	v_cvt_pk_fp8_f32 v56, v56, v57                             // 000000009320: D2A20038 00027338
	v_cvt_pk_fp8_f32 v56, v58, v59 op_sel:[0,0,1]              // 000000009328: D2A24038 0002773A
	v_pk_mul_f32 v[68:69], v[4:5], v[68:69]                    // 000000009330: D3B14044 18028904
	v_pk_mul_f32 v[70:71], v[4:5], v[70:71]                    // 000000009338: D3B14046 18028D04
	v_cvt_pk_fp8_f32 v68, v68, v69                             // 000000009340: D2A20044 00028B44
	v_cvt_pk_fp8_f32 v68, v70, v71 op_sel:[0,0,1]              // 000000009348: D2A24044 00028F46
	v_rcp_f32_e32 v101, v101                                   // 000000009350: 7ECA4565
	v_mov_b32_e32 v104, 0x358637bd                             // 000000009354: 7ED002FF 358637BD
	v_max3_f32 v104, |v80|, |v81|, v104                        // 00000000935C: D1D30368 05A2A350
	v_max3_f32 v104, |v82|, |v83|, v104                        // 000000009364: D1D30368 05A2A752
	v_max3_f32 v104, |v92|, |v93|, v104                        // 00000000936C: D1D30368 05A2BB5C
	v_max3_f32 v104, |v94|, |v95|, v104                        // 000000009374: D1D30368 05A2BF5E
	ds_write_b32 v106, v104                                    // 00000000937C: D81A0000 0000686A
	s_waitcnt lgkmcnt(0)                                       // 000000009384: BF8CC07F
	s_barrier                                                  // 000000009388: BF8A0000
	ds_read_b32 v4, v107                                       // 00000000938C: D86C0000 0400006B
	ds_read_b32 v5, v107 offset:64                             // 000000009394: D86C0040 0500006B
	ds_read_b32 v6, v107 offset:128                            // 00000000939C: D86C0080 0600006B
	ds_read_b32 v7, v107 offset:192                            // 0000000093A4: D86C00C0 0700006B
	ds_read_b32 v8, v107 offset:256                            // 0000000093AC: D86C0100 0800006B
	ds_read_b32 v9, v107 offset:320                            // 0000000093B4: D86C0140 0900006B
	ds_read_b32 v10, v107 offset:384                           // 0000000093BC: D86C0180 0A00006B
	ds_read_b32 v11, v107 offset:448                           // 0000000093C4: D86C01C0 0B00006B
	ds_read_b32 v12, v107 offset:512                           // 0000000093CC: D86C0200 0C00006B
	ds_read_b32 v13, v107 offset:576                           // 0000000093D4: D86C0240 0D00006B
	ds_read_b32 v14, v107 offset:640                           // 0000000093DC: D86C0280 0E00006B
	ds_read_b32 v15, v107 offset:704                           // 0000000093E4: D86C02C0 0F00006B
	ds_read_b32 v16, v107 offset:768                           // 0000000093EC: D86C0300 1000006B
	ds_read_b32 v17, v107 offset:832                           // 0000000093F4: D86C0340 1100006B
	ds_read_b32 v18, v107 offset:896                           // 0000000093FC: D86C0380 1200006B
	ds_read_b32 v19, v107 offset:960                           // 000000009404: D86C03C0 1300006B
	s_waitcnt lgkmcnt(0)                                       // 00000000940C: BF8CC07F
	s_barrier                                                  // 000000009410: BF8A0000
	v_max3_f32 v104, |v4|, |v5|, v104                          // 000000009414: D1D30368 05A20B04
	v_max3_f32 v104, |v6|, |v7|, v104                          // 00000000941C: D1D30368 05A20F06
	v_max3_f32 v104, |v8|, |v9|, v104                          // 000000009424: D1D30368 05A21308
	v_max3_f32 v104, |v10|, |v11|, v104                        // 00000000942C: D1D30368 05A2170A
	v_max3_f32 v104, |v12|, |v13|, v104                        // 000000009434: D1D30368 05A21B0C
	v_max3_f32 v104, |v14|, |v15|, v104                        // 00000000943C: D1D30368 05A21F0E
	v_max3_f32 v104, |v16|, |v17|, v104                        // 000000009444: D1D30368 05A22310
	v_max3_f32 v104, |v18|, |v19|, v104                        // 00000000944C: D1D30368 05A22712
	v_rcp_f32_e32 v104, v104                                   // 000000009454: 7ED04568
	v_mov_b32_e32 v4, 0x43700000                               // 000000009458: 7E0802FF 43700000
	v_mul_f32_e32 v104, v4, v104                               // 000000009460: 0AD0D104
	v_mov_b32_e32 v4, v104                                     // 000000009464: 7E080368
	v_mov_b32_e32 v5, v4                                       // 000000009468: 7E0A0304
	v_pk_mul_f32 v[80:81], v[4:5], v[80:81]                    // 00000000946C: D3B14050 1802A104
	v_pk_mul_f32 v[82:83], v[4:5], v[82:83]                    // 000000009474: D3B14052 1802A504
	v_cvt_pk_fp8_f32 v80, v80, v81                             // 00000000947C: D2A20050 0002A350
	v_cvt_pk_fp8_f32 v80, v82, v83 op_sel:[0,0,1]              // 000000009484: D2A24050 0002A752
	v_pk_mul_f32 v[92:93], v[4:5], v[92:93]                    // 00000000948C: D3B1405C 1802B904
	v_pk_mul_f32 v[94:95], v[4:5], v[94:95]                    // 000000009494: D3B1405E 1802BD04
	v_cvt_pk_fp8_f32 v92, v92, v93                             // 00000000949C: D2A2005C 0002BB5C
	v_cvt_pk_fp8_f32 v92, v94, v95 op_sel:[0,0,1]              // 0000000094A4: D2A2405C 0002BF5E
	v_rcp_f32_e32 v104, v104                                   // 0000000094AC: 7ED04568
	v_mov_b32_e32 v102, 0x358637bd                             // 0000000094B0: 7ECC02FF 358637BD
	v_max3_f32 v102, |v60|, |v61|, v102                        // 0000000094B8: D1D30366 059A7B3C
	v_max3_f32 v102, |v62|, |v63|, v102                        // 0000000094C0: D1D30366 059A7F3E
	v_max3_f32 v102, |v72|, |v73|, v102                        // 0000000094C8: D1D30366 059A9348
	v_max3_f32 v102, |v74|, |v75|, v102                        // 0000000094D0: D1D30366 059A974A
	ds_write_b32 v106, v102                                    // 0000000094D8: D81A0000 0000666A
	s_waitcnt lgkmcnt(0)                                       // 0000000094E0: BF8CC07F
	s_barrier                                                  // 0000000094E4: BF8A0000
	ds_read_b32 v4, v107                                       // 0000000094E8: D86C0000 0400006B
	ds_read_b32 v5, v107 offset:64                             // 0000000094F0: D86C0040 0500006B
	ds_read_b32 v6, v107 offset:128                            // 0000000094F8: D86C0080 0600006B
	ds_read_b32 v7, v107 offset:192                            // 000000009500: D86C00C0 0700006B
	ds_read_b32 v8, v107 offset:256                            // 000000009508: D86C0100 0800006B
	ds_read_b32 v9, v107 offset:320                            // 000000009510: D86C0140 0900006B
	ds_read_b32 v10, v107 offset:384                           // 000000009518: D86C0180 0A00006B
	ds_read_b32 v11, v107 offset:448                           // 000000009520: D86C01C0 0B00006B
	ds_read_b32 v12, v107 offset:512                           // 000000009528: D86C0200 0C00006B
	ds_read_b32 v13, v107 offset:576                           // 000000009530: D86C0240 0D00006B
	ds_read_b32 v14, v107 offset:640                           // 000000009538: D86C0280 0E00006B
	ds_read_b32 v15, v107 offset:704                           // 000000009540: D86C02C0 0F00006B
	ds_read_b32 v16, v107 offset:768                           // 000000009548: D86C0300 1000006B
	ds_read_b32 v17, v107 offset:832                           // 000000009550: D86C0340 1100006B
	ds_read_b32 v18, v107 offset:896                           // 000000009558: D86C0380 1200006B
	ds_read_b32 v19, v107 offset:960                           // 000000009560: D86C03C0 1300006B
	s_waitcnt lgkmcnt(0)                                       // 000000009568: BF8CC07F
	s_barrier                                                  // 00000000956C: BF8A0000
	v_max3_f32 v102, |v4|, |v5|, v102                          // 000000009570: D1D30366 059A0B04
	v_max3_f32 v102, |v6|, |v7|, v102                          // 000000009578: D1D30366 059A0F06
	v_max3_f32 v102, |v8|, |v9|, v102                          // 000000009580: D1D30366 059A1308
	v_max3_f32 v102, |v10|, |v11|, v102                        // 000000009588: D1D30366 059A170A
	v_max3_f32 v102, |v12|, |v13|, v102                        // 000000009590: D1D30366 059A1B0C
	v_max3_f32 v102, |v14|, |v15|, v102                        // 000000009598: D1D30366 059A1F0E
	v_max3_f32 v102, |v16|, |v17|, v102                        // 0000000095A0: D1D30366 059A2310
	v_max3_f32 v102, |v18|, |v19|, v102                        // 0000000095A8: D1D30366 059A2712
	v_rcp_f32_e32 v102, v102                                   // 0000000095B0: 7ECC4566
	v_mov_b32_e32 v4, 0x43700000                               // 0000000095B4: 7E0802FF 43700000
	v_mul_f32_e32 v102, v4, v102                               // 0000000095BC: 0ACCCD04
	v_mov_b32_e32 v4, v102                                     // 0000000095C0: 7E080366
	v_mov_b32_e32 v5, v4                                       // 0000000095C4: 7E0A0304
	v_pk_mul_f32 v[60:61], v[4:5], v[60:61]                    // 0000000095C8: D3B1403C 18027904
	v_pk_mul_f32 v[62:63], v[4:5], v[62:63]                    // 0000000095D0: D3B1403E 18027D04
	v_cvt_pk_fp8_f32 v60, v60, v61                             // 0000000095D8: D2A2003C 00027B3C
	v_cvt_pk_fp8_f32 v60, v62, v63 op_sel:[0,0,1]              // 0000000095E0: D2A2403C 00027F3E
	v_pk_mul_f32 v[72:73], v[4:5], v[72:73]                    // 0000000095E8: D3B14048 18029104
	v_pk_mul_f32 v[74:75], v[4:5], v[74:75]                    // 0000000095F0: D3B1404A 18029504
	v_cvt_pk_fp8_f32 v72, v72, v73                             // 0000000095F8: D2A20048 00029348
	v_cvt_pk_fp8_f32 v72, v74, v75 op_sel:[0,0,1]              // 000000009600: D2A24048 0002974A
	v_rcp_f32_e32 v102, v102                                   // 000000009608: 7ECC4566
	v_mov_b32_e32 v105, 0x358637bd                             // 00000000960C: 7ED202FF 358637BD
	v_max3_f32 v105, |v84|, |v85|, v105                        // 000000009614: D1D30369 05A6AB54
	v_max3_f32 v105, |v86|, |v87|, v105                        // 00000000961C: D1D30369 05A6AF56
	v_max3_f32 v105, |v96|, |v97|, v105                        // 000000009624: D1D30369 05A6C360
	v_max3_f32 v105, |v98|, |v99|, v105                        // 00000000962C: D1D30369 05A6C762
	ds_write_b32 v106, v105                                    // 000000009634: D81A0000 0000696A
	s_waitcnt lgkmcnt(0)                                       // 00000000963C: BF8CC07F
	s_barrier                                                  // 000000009640: BF8A0000
	ds_read_b32 v4, v107                                       // 000000009644: D86C0000 0400006B
	ds_read_b32 v5, v107 offset:64                             // 00000000964C: D86C0040 0500006B
	ds_read_b32 v6, v107 offset:128                            // 000000009654: D86C0080 0600006B
	ds_read_b32 v7, v107 offset:192                            // 00000000965C: D86C00C0 0700006B
	ds_read_b32 v8, v107 offset:256                            // 000000009664: D86C0100 0800006B
	ds_read_b32 v9, v107 offset:320                            // 00000000966C: D86C0140 0900006B
	ds_read_b32 v10, v107 offset:384                           // 000000009674: D86C0180 0A00006B
	ds_read_b32 v11, v107 offset:448                           // 00000000967C: D86C01C0 0B00006B
	ds_read_b32 v12, v107 offset:512                           // 000000009684: D86C0200 0C00006B
	ds_read_b32 v13, v107 offset:576                           // 00000000968C: D86C0240 0D00006B
	ds_read_b32 v14, v107 offset:640                           // 000000009694: D86C0280 0E00006B
	ds_read_b32 v15, v107 offset:704                           // 00000000969C: D86C02C0 0F00006B
	ds_read_b32 v16, v107 offset:768                           // 0000000096A4: D86C0300 1000006B
	ds_read_b32 v17, v107 offset:832                           // 0000000096AC: D86C0340 1100006B
	ds_read_b32 v18, v107 offset:896                           // 0000000096B4: D86C0380 1200006B
	ds_read_b32 v19, v107 offset:960                           // 0000000096BC: D86C03C0 1300006B
	s_waitcnt lgkmcnt(0)                                       // 0000000096C4: BF8CC07F
	s_barrier                                                  // 0000000096C8: BF8A0000
	v_max3_f32 v105, |v4|, |v5|, v105                          // 0000000096CC: D1D30369 05A60B04
	v_max3_f32 v105, |v6|, |v7|, v105                          // 0000000096D4: D1D30369 05A60F06
	v_max3_f32 v105, |v8|, |v9|, v105                          // 0000000096DC: D1D30369 05A61308
	v_max3_f32 v105, |v10|, |v11|, v105                        // 0000000096E4: D1D30369 05A6170A
	v_max3_f32 v105, |v12|, |v13|, v105                        // 0000000096EC: D1D30369 05A61B0C
	v_max3_f32 v105, |v14|, |v15|, v105                        // 0000000096F4: D1D30369 05A61F0E
	v_max3_f32 v105, |v16|, |v17|, v105                        // 0000000096FC: D1D30369 05A62310
	v_max3_f32 v105, |v18|, |v19|, v105                        // 000000009704: D1D30369 05A62712
	v_rcp_f32_e32 v105, v105                                   // 00000000970C: 7ED24569
	v_mov_b32_e32 v4, 0x43700000                               // 000000009710: 7E0802FF 43700000
	v_mul_f32_e32 v105, v4, v105                               // 000000009718: 0AD2D304
	v_mov_b32_e32 v4, v105                                     // 00000000971C: 7E080369
	v_mov_b32_e32 v5, v4                                       // 000000009720: 7E0A0304
	v_pk_mul_f32 v[84:85], v[4:5], v[84:85]                    // 000000009724: D3B14054 1802A904
	v_pk_mul_f32 v[86:87], v[4:5], v[86:87]                    // 00000000972C: D3B14056 1802AD04
	v_cvt_pk_fp8_f32 v84, v84, v85                             // 000000009734: D2A20054 0002AB54
	v_cvt_pk_fp8_f32 v84, v86, v87 op_sel:[0,0,1]              // 00000000973C: D2A24054 0002AF56
	v_pk_mul_f32 v[96:97], v[4:5], v[96:97]                    // 000000009744: D3B14060 1802C104
	v_pk_mul_f32 v[98:99], v[4:5], v[98:99]                    // 00000000974C: D3B14062 1802C504
	v_cvt_pk_fp8_f32 v96, v96, v97                             // 000000009754: D2A20060 0002C360
	v_cvt_pk_fp8_f32 v96, v98, v99 op_sel:[0,0,1]              // 00000000975C: D2A24060 0002C762
	v_rcp_f32_e32 v105, v105                                   // 000000009764: 7ED24569
	v_lshrrev_b32_e32 v4, 5, v0                                // 000000009768: 20080085
	v_mul_lo_u32 v20, 34, v4                                   // 00000000976C: D2850014 000208A2
	v_and_b32_e32 v4, 31, v0                                   // 000000009774: 2608009F
	v_lshrrev_b32_e32 v5, 4, v4                                // 000000009778: 200A0884
	v_add_u32_e32 v20, v5, v20                                 // 00000000977C: 68282905
	v_and_b32_e32 v4, 15, v0                                   // 000000009780: 2608008F
	v_mul_lo_u32 v5, 2, v4                                     // 000000009784: D2850005 00020882
	v_add_u32_e32 v20, v5, v20                                 // 00000000978C: 68282905
	s_mul_i32 s60, s7, 0x44                                    // 000000009790: 923CFF07 00000044
	v_add_u32_e32 v20, s60, v20                                // 000000009798: 6828283C
	v_lshlrev_b32_e32 v20, 2, v20                              // 00000000979C: 24282882
	ds_write_b32 v20, v52                                      // 0000000097A0: D81A0000 00003414
	ds_write_b32 v20, v56 offset:4352                          // 0000000097A8: D81A1100 00003814
	ds_write_b32 v20, v60 offset:8704                          // 0000000097B0: D81A2200 00003C14
	ds_write_b32 v20, v64 offset:1088                          // 0000000097B8: D81A0440 00004014
	ds_write_b32 v20, v68 offset:5440                          // 0000000097C0: D81A1540 00004414
	ds_write_b32 v20, v72 offset:9792                          // 0000000097C8: D81A2640 00004814
	ds_write_b32 v20, v76 offset:2176                          // 0000000097D0: D81A0880 00004C14
	ds_write_b32 v20, v80 offset:6528                          // 0000000097D8: D81A1980 00005014
	ds_write_b32 v20, v84 offset:10880                         // 0000000097E0: D81A2A80 00005414
	ds_write_b32 v20, v88 offset:3264                          // 0000000097E8: D81A0CC0 00005814
	ds_write_b32 v20, v92 offset:7616                          // 0000000097F0: D81A1DC0 00005C14
	ds_write_b32 v20, v96 offset:11968                         // 0000000097F8: D81A2EC0 00006014
	v_lshrrev_b32_e32 v4, 5, v0                                // 000000009800: 20080085
	v_xor_b32_e32 v5, 1, v4                                    // 000000009804: 2A0A0881
	s_mul_i32 s60, s65, 1                                      // 000000009808: 923C8141
	s_cmp_eq_u32 s88, 0                                        // 00000000980C: BF068058
	s_cselect_b32 s61, 1, 8                                    // 000000009810: 853D8881
	s_mul_i32 s60, s61, s60                                    // 000000009814: 923C3C3D
	v_readlane_b32 s82, v3, 0                                  // 000000009818: D2890052 00010103
	s_lshr_b32 s61, s82, 24                                    // 000000009820: 8F3D9852
	s_and_b32 s82, s82, 0xffffff                               // 000000009824: 8652FF52 00FFFFFF
	s_mul_i32 s82, s82, s71                                    // 00000000982C: 92524752
	s_mul_i32 s61, s60, s61                                    // 000000009830: 923D3D3C
	s_add_u32 s82, s82, s61                                    // 000000009834: 80523D52
	v_mul_lo_u32 v6, v5, s82                                   // 000000009838: D2850006 0000A505
	v_readlane_b32 s82, v3, 1                                  // 000000009840: D2890052 00010303
	s_lshr_b32 s61, s82, 24                                    // 000000009848: 8F3D9852
	s_and_b32 s82, s82, 0xffffff                               // 00000000984C: 8652FF52 00FFFFFF
	s_mul_i32 s82, s82, s71                                    // 000000009854: 92524752
	s_mul_i32 s61, s60, s61                                    // 000000009858: 923D3D3C
	s_add_u32 s82, s82, s61                                    // 00000000985C: 80523D52
	v_mul_lo_u32 v7, v4, s82                                   // 000000009860: D2850007 0000A504
	v_add_u32_e32 v40, v6, v7                                  // 000000009868: 68500F06
	v_readlane_b32 s82, v3, 2                                  // 00000000986C: D2890052 00010503
	s_lshr_b32 s61, s82, 24                                    // 000000009874: 8F3D9852
	s_and_b32 s82, s82, 0xffffff                               // 000000009878: 8652FF52 00FFFFFF
	s_mul_i32 s82, s82, s71                                    // 000000009880: 92524752
	s_mul_i32 s61, s60, s61                                    // 000000009884: 923D3D3C
	s_add_u32 s82, s82, s61                                    // 000000009888: 80523D52
	v_mul_lo_u32 v6, v5, s82                                   // 00000000988C: D2850006 0000A505
	v_readlane_b32 s82, v3, 3                                  // 000000009894: D2890052 00010703
	s_lshr_b32 s61, s82, 24                                    // 00000000989C: 8F3D9852
	s_and_b32 s82, s82, 0xffffff                               // 0000000098A0: 8652FF52 00FFFFFF
	s_mul_i32 s82, s82, s71                                    // 0000000098A8: 92524752
	s_mul_i32 s61, s60, s61                                    // 0000000098AC: 923D3D3C
	s_add_u32 s82, s82, s61                                    // 0000000098B0: 80523D52
	v_mul_lo_u32 v7, v4, s82                                   // 0000000098B4: D2850007 0000A504
	v_add_u32_e32 v41, v6, v7                                  // 0000000098BC: 68520F06
	v_readlane_b32 s82, v3, 4                                  // 0000000098C0: D2890052 00010903
	s_lshr_b32 s61, s82, 24                                    // 0000000098C8: 8F3D9852
	s_and_b32 s82, s82, 0xffffff                               // 0000000098CC: 8652FF52 00FFFFFF
	s_mul_i32 s82, s82, s71                                    // 0000000098D4: 92524752
	s_mul_i32 s61, s60, s61                                    // 0000000098D8: 923D3D3C
	s_add_u32 s82, s82, s61                                    // 0000000098DC: 80523D52
	v_mul_lo_u32 v6, v5, s82                                   // 0000000098E0: D2850006 0000A505
	v_readlane_b32 s82, v3, 5                                  // 0000000098E8: D2890052 00010B03
	s_lshr_b32 s61, s82, 24                                    // 0000000098F0: 8F3D9852
	s_and_b32 s82, s82, 0xffffff                               // 0000000098F4: 8652FF52 00FFFFFF
	s_mul_i32 s82, s82, s71                                    // 0000000098FC: 92524752
	s_mul_i32 s61, s60, s61                                    // 000000009900: 923D3D3C
	s_add_u32 s82, s82, s61                                    // 000000009904: 80523D52
	v_mul_lo_u32 v7, v4, s82                                   // 000000009908: D2850007 0000A504
	v_add_u32_e32 v42, v6, v7                                  // 000000009910: 68540F06
	v_readlane_b32 s82, v3, 6                                  // 000000009914: D2890052 00010D03
	s_lshr_b32 s61, s82, 24                                    // 00000000991C: 8F3D9852
	s_and_b32 s82, s82, 0xffffff                               // 000000009920: 8652FF52 00FFFFFF
	s_mul_i32 s82, s82, s71                                    // 000000009928: 92524752
	s_mul_i32 s61, s60, s61                                    // 00000000992C: 923D3D3C
	s_add_u32 s82, s82, s61                                    // 000000009930: 80523D52
	v_mul_lo_u32 v6, v5, s82                                   // 000000009934: D2850006 0000A505
	v_readlane_b32 s82, v3, 7                                  // 00000000993C: D2890052 00010F03
	s_lshr_b32 s61, s82, 24                                    // 000000009944: 8F3D9852
	s_and_b32 s82, s82, 0xffffff                               // 000000009948: 8652FF52 00FFFFFF
	s_mul_i32 s82, s82, s71                                    // 000000009950: 92524752
	s_mul_i32 s61, s60, s61                                    // 000000009954: 923D3D3C
	s_add_u32 s82, s82, s61                                    // 000000009958: 80523D52
	v_mul_lo_u32 v7, v4, s82                                   // 00000000995C: D2850007 0000A504
	v_add_u32_e32 v43, v6, v7                                  // 000000009964: 68560F06
	v_readlane_b32 s82, v3, 8                                  // 000000009968: D2890052 00011103
	s_lshr_b32 s61, s82, 24                                    // 000000009970: 8F3D9852
	s_and_b32 s82, s82, 0xffffff                               // 000000009974: 8652FF52 00FFFFFF
	s_mul_i32 s82, s82, s71                                    // 00000000997C: 92524752
	s_mul_i32 s61, s60, s61                                    // 000000009980: 923D3D3C
	s_add_u32 s82, s82, s61                                    // 000000009984: 80523D52
	v_mul_lo_u32 v6, v5, s82                                   // 000000009988: D2850006 0000A505
	v_readlane_b32 s82, v3, 9                                  // 000000009990: D2890052 00011303
	s_lshr_b32 s61, s82, 24                                    // 000000009998: 8F3D9852
	s_and_b32 s82, s82, 0xffffff                               // 00000000999C: 8652FF52 00FFFFFF
	s_mul_i32 s82, s82, s71                                    // 0000000099A4: 92524752
	s_mul_i32 s61, s60, s61                                    // 0000000099A8: 923D3D3C
	s_add_u32 s82, s82, s61                                    // 0000000099AC: 80523D52
	v_mul_lo_u32 v7, v4, s82                                   // 0000000099B0: D2850007 0000A504
	v_add_u32_e32 v44, v6, v7                                  // 0000000099B8: 68580F06
	v_readlane_b32 s82, v3, 10                                 // 0000000099BC: D2890052 00011503
	s_lshr_b32 s61, s82, 24                                    // 0000000099C4: 8F3D9852
	s_and_b32 s82, s82, 0xffffff                               // 0000000099C8: 8652FF52 00FFFFFF
	s_mul_i32 s82, s82, s71                                    // 0000000099D0: 92524752
	s_mul_i32 s61, s60, s61                                    // 0000000099D4: 923D3D3C
	s_add_u32 s82, s82, s61                                    // 0000000099D8: 80523D52
	v_mul_lo_u32 v6, v5, s82                                   // 0000000099DC: D2850006 0000A505
	v_readlane_b32 s82, v3, 11                                 // 0000000099E4: D2890052 00011703
	s_lshr_b32 s61, s82, 24                                    // 0000000099EC: 8F3D9852
	s_and_b32 s82, s82, 0xffffff                               // 0000000099F0: 8652FF52 00FFFFFF
	s_mul_i32 s82, s82, s71                                    // 0000000099F8: 92524752
	s_mul_i32 s61, s60, s61                                    // 0000000099FC: 923D3D3C
	s_add_u32 s82, s82, s61                                    // 000000009A00: 80523D52
	v_mul_lo_u32 v7, v4, s82                                   // 000000009A04: D2850007 0000A504
	v_add_u32_e32 v45, v6, v7                                  // 000000009A0C: 685A0F06
	v_and_b32_e32 v4, 31, v0                                   // 000000009A10: 2608009F
	v_lshrrev_b32_e32 v4, 1, v4                                // 000000009A14: 20080881
	s_cmp_eq_u32 s88, 0                                        // 000000009A18: BF068058
	s_cselect_b32 s61, 2, 4                                    // 000000009A1C: 853D8482
	v_mul_lo_u32 v4, v4, s61                                   // 000000009A20: D2850004 00007B04
	v_and_b32_e64 v5, v0, 1                                    // 000000009A28: D1130005 00010300
	v_add_u32_e32 v4, v4, v5                                   // 000000009A30: 68080B04
	v_lshlrev_b32_e32 v4, 2, v4                                // 000000009A34: 24080882
	v_add_u32_e32 v40, v40, v4                                 // 000000009A38: 68500928
	v_add_u32_e32 v41, v41, v4                                 // 000000009A3C: 68520929
	v_add_u32_e32 v42, v42, v4                                 // 000000009A40: 6854092A
	v_add_u32_e32 v43, v43, v4                                 // 000000009A44: 6856092B
	v_add_u32_e32 v44, v44, v4                                 // 000000009A48: 6858092C
	v_add_u32_e32 v45, v45, v4                                 // 000000009A4C: 685A092D
	s_waitcnt lgkmcnt(0)                                       // 000000009A50: BF8CC07F
	s_barrier                                                  // 000000009A54: BF8A0000
	ds_read_b32 v52, v21                                       // 000000009A58: D86C0000 34000015
	ds_read_b32 v53, v21 offset:64                             // 000000009A60: D86C0040 35000015
	ds_read_b32 v54, v21 offset:2176                           // 000000009A68: D86C0880 36000015
	ds_read_b32 v55, v21 offset:2240                           // 000000009A70: D86C08C0 37000015
	ds_read_b32 v56, v21 offset:4352                           // 000000009A78: D86C1100 38000015
	ds_read_b32 v57, v21 offset:4416                           // 000000009A80: D86C1140 39000015
	ds_read_b32 v58, v21 offset:6528                           // 000000009A88: D86C1980 3A000015
	ds_read_b32 v59, v21 offset:6592                           // 000000009A90: D86C19C0 3B000015
	ds_read_b32 v60, v21 offset:8704                           // 000000009A98: D86C2200 3C000015
	ds_read_b32 v61, v21 offset:8768                           // 000000009AA0: D86C2240 3D000015
	ds_read_b32 v62, v21 offset:10880                          // 000000009AA8: D86C2A80 3E000015
	ds_read_b32 v63, v21 offset:10944                          // 000000009AB0: D86C2AC0 3F000015
	s_waitcnt lgkmcnt(0)                                       // 000000009AB8: BF8CC07F
	s_mov_b32 s36, -1                                          // 000000009ABC: BEA400C1
	s_mov_b32 s37, -1                                          // 000000009AC0: BEA500C1
	v_mov_b32_e32 v7, 0                                        // 000000009AC4: 7E0E0280
	s_or_b32 s9, s9, 0x40000                                   // 000000009AC8: 8709FF09 00040000
	s_mov_b64 exec, s[36:37]                                   // 000000009AD0: BEFE0124
	v_mov_b32_e32 v6, v40                                      // 000000009AD4: 7E0C0328
	s_mov_b64 s[60:61], 0                                      // 000000009AD8: BEBC0180
	v_readlane_b32 s82, v3, 0                                  // 000000009ADC: D2890052 00010103
	s_and_b32 s82, s82, 0xffffff                               // 000000009AE4: 8652FF52 00FFFFFF
	s_cmp_lt_u32 s82, s66                                      // 000000009AEC: BF0A4252
	s_cselect_b32 s20, s36, s60                                // 000000009AF0: 85143C24
	v_readlane_b32 s82, v3, 1                                  // 000000009AF4: D2890052 00010303
	s_and_b32 s82, s82, 0xffffff                               // 000000009AFC: 8652FF52 00FFFFFF
	s_cmp_lt_u32 s82, s66                                      // 000000009B04: BF0A4252
	s_cselect_b32 s21, s36, s60                                // 000000009B08: 85153C24
	s_mov_b64 exec, s[20:21]                                   // 000000009B0C: BEFE0114
	buffer_store_dword v52, v6, s[8:11], 0 offen               // 000000009B10: E0701000 80023406
	buffer_store_dword v54, v6, s[8:11], 0 offen offset:128    // 000000009B18: E0701080 80023606
	s_mov_b64 exec, s[36:37]                                   // 000000009B20: BEFE0124
	v_mov_b32_e32 v6, v41                                      // 000000009B24: 7E0C0329
	s_mov_b64 s[60:61], 0                                      // 000000009B28: BEBC0180
	v_readlane_b32 s82, v3, 2                                  // 000000009B2C: D2890052 00010503
	s_and_b32 s82, s82, 0xffffff                               // 000000009B34: 8652FF52 00FFFFFF
	s_cmp_lt_u32 s82, s66                                      // 000000009B3C: BF0A4252
	s_cselect_b32 s20, s36, s60                                // 000000009B40: 85143C24
	v_readlane_b32 s82, v3, 3                                  // 000000009B44: D2890052 00010703
	s_and_b32 s82, s82, 0xffffff                               // 000000009B4C: 8652FF52 00FFFFFF
	s_cmp_lt_u32 s82, s66                                      // 000000009B54: BF0A4252
	s_cselect_b32 s21, s36, s60                                // 000000009B58: 85153C24
	s_mov_b64 exec, s[20:21]                                   // 000000009B5C: BEFE0114
	buffer_store_dword v53, v6, s[8:11], 0 offen               // 000000009B60: E0701000 80023506
	buffer_store_dword v55, v6, s[8:11], 0 offen offset:128    // 000000009B68: E0701080 80023706
	s_mov_b64 exec, s[36:37]                                   // 000000009B70: BEFE0124
	v_mov_b32_e32 v6, v42                                      // 000000009B74: 7E0C032A
	s_mov_b64 s[60:61], 0                                      // 000000009B78: BEBC0180
	v_readlane_b32 s82, v3, 4                                  // 000000009B7C: D2890052 00010903
	s_and_b32 s82, s82, 0xffffff                               // 000000009B84: 8652FF52 00FFFFFF
	s_cmp_lt_u32 s82, s66                                      // 000000009B8C: BF0A4252
	s_cselect_b32 s20, s36, s60                                // 000000009B90: 85143C24
	v_readlane_b32 s82, v3, 5                                  // 000000009B94: D2890052 00010B03
	s_and_b32 s82, s82, 0xffffff                               // 000000009B9C: 8652FF52 00FFFFFF
	s_cmp_lt_u32 s82, s66                                      // 000000009BA4: BF0A4252
	s_cselect_b32 s21, s36, s60                                // 000000009BA8: 85153C24
	s_mov_b64 exec, s[20:21]                                   // 000000009BAC: BEFE0114
	buffer_store_dword v56, v6, s[8:11], 0 offen               // 000000009BB0: E0701000 80023806
	buffer_store_dword v58, v6, s[8:11], 0 offen offset:128    // 000000009BB8: E0701080 80023A06
	s_mov_b64 exec, s[36:37]                                   // 000000009BC0: BEFE0124
	v_mov_b32_e32 v6, v43                                      // 000000009BC4: 7E0C032B
	s_mov_b64 s[60:61], 0                                      // 000000009BC8: BEBC0180
	v_readlane_b32 s82, v3, 6                                  // 000000009BCC: D2890052 00010D03
	s_and_b32 s82, s82, 0xffffff                               // 000000009BD4: 8652FF52 00FFFFFF
	s_cmp_lt_u32 s82, s66                                      // 000000009BDC: BF0A4252
	s_cselect_b32 s20, s36, s60                                // 000000009BE0: 85143C24
	v_readlane_b32 s82, v3, 7                                  // 000000009BE4: D2890052 00010F03
	s_and_b32 s82, s82, 0xffffff                               // 000000009BEC: 8652FF52 00FFFFFF
	s_cmp_lt_u32 s82, s66                                      // 000000009BF4: BF0A4252
	s_cselect_b32 s21, s36, s60                                // 000000009BF8: 85153C24
	s_mov_b64 exec, s[20:21]                                   // 000000009BFC: BEFE0114
	buffer_store_dword v57, v6, s[8:11], 0 offen               // 000000009C00: E0701000 80023906
	buffer_store_dword v59, v6, s[8:11], 0 offen offset:128    // 000000009C08: E0701080 80023B06
	s_mov_b64 exec, s[36:37]                                   // 000000009C10: BEFE0124
	v_mov_b32_e32 v6, v44                                      // 000000009C14: 7E0C032C
	s_mov_b64 s[60:61], 0                                      // 000000009C18: BEBC0180
	v_readlane_b32 s82, v3, 8                                  // 000000009C1C: D2890052 00011103
	s_and_b32 s82, s82, 0xffffff                               // 000000009C24: 8652FF52 00FFFFFF
	s_cmp_lt_u32 s82, s66                                      // 000000009C2C: BF0A4252
	s_cselect_b32 s20, s36, s60                                // 000000009C30: 85143C24
	v_readlane_b32 s82, v3, 9                                  // 000000009C34: D2890052 00011303
	s_and_b32 s82, s82, 0xffffff                               // 000000009C3C: 8652FF52 00FFFFFF
	s_cmp_lt_u32 s82, s66                                      // 000000009C44: BF0A4252
	s_cselect_b32 s21, s36, s60                                // 000000009C48: 85153C24
	s_mov_b64 exec, s[20:21]                                   // 000000009C4C: BEFE0114
	buffer_store_dword v60, v6, s[8:11], 0 offen               // 000000009C50: E0701000 80023C06
	buffer_store_dword v62, v6, s[8:11], 0 offen offset:128    // 000000009C58: E0701080 80023E06
	s_mov_b64 exec, s[36:37]                                   // 000000009C60: BEFE0124
	v_mov_b32_e32 v6, v45                                      // 000000009C64: 7E0C032D
	s_mov_b64 s[60:61], 0                                      // 000000009C68: BEBC0180
	v_readlane_b32 s82, v3, 10                                 // 000000009C6C: D2890052 00011503
	s_and_b32 s82, s82, 0xffffff                               // 000000009C74: 8652FF52 00FFFFFF
	s_cmp_lt_u32 s82, s66                                      // 000000009C7C: BF0A4252
	s_cselect_b32 s20, s36, s60                                // 000000009C80: 85143C24
	v_readlane_b32 s82, v3, 11                                 // 000000009C84: D2890052 00011703
	s_and_b32 s82, s82, 0xffffff                               // 000000009C8C: 8652FF52 00FFFFFF
	s_cmp_lt_u32 s82, s66                                      // 000000009C94: BF0A4252
	s_cselect_b32 s21, s36, s60                                // 000000009C98: 85153C24
	s_mov_b64 exec, s[20:21]                                   // 000000009C9C: BEFE0114
	buffer_store_dword v61, v6, s[8:11], 0 offen               // 000000009CA0: E0701000 80023D06
	buffer_store_dword v63, v6, s[8:11], 0 offen offset:128    // 000000009CA8: E0701080 80023F06
	s_mov_b64 exec, s[36:37]                                   // 000000009CB0: BEFE0124
	s_cmp_eq_u32 s7, 0                                         // 000000009CB4: BF068007
	s_cbranch_scc0 label_20F6                                  // 000000009CB8: BF840444
	s_waitcnt vmcnt(12)                                        // 000000009CBC: BF8C0F7C
	s_mov_b32 s8, s90                                          // 000000009CC0: BE88005A
	s_mov_b32 s9, s91                                          // 000000009CC4: BE89005B
	s_mul_i32 s60, s66, s71                                    // 000000009CC8: 923C4742
	s_add_u32 s8, s60, s8                                      // 000000009CCC: 8008083C
	s_addc_u32 s9, 0, s9                                       // 000000009CD0: 82090980
	s_lshr_b32 s71, s71, 5                                     // 000000009CD4: 8F478547
	s_mul_i32 s60, s66, s71                                    // 000000009CD8: 923C4742
	s_mov_b32 s10, s60                                         // 000000009CDC: BE8A003C
	s_lshr_b32 s61, s65, 5                                     // 000000009CE0: 8F3D8541
	s_mul_i32 s60, s2, 8                                       // 000000009CE4: 923C8802
	v_lshrrev_b32_e32 v4, 24, v28                              // 000000009CE8: 20083898
	v_mul_lo_u32 v4, s61, v4                                   // 000000009CEC: D2850004 0002083D
	v_and_b32_e32 v28, 0xffffff, v28                           // 000000009CF4: 263838FF 00FFFFFF
	v_mul_lo_u32 v28, s71, v28                                 // 000000009CFC: D285001C 00023847
	v_add_u32_e32 v28, v4, v28                                 // 000000009D04: 68383904
	v_add_u32_e32 v28, s60, v28                                // 000000009D08: 6838383C
	v_lshrrev_b32_e32 v4, 24, v29                              // 000000009D0C: 20083A98
	v_mul_lo_u32 v4, s61, v4                                   // 000000009D10: D2850004 0002083D
	v_and_b32_e32 v29, 0xffffff, v29                           // 000000009D18: 263A3AFF 00FFFFFF
	v_mul_lo_u32 v29, s71, v29                                 // 000000009D20: D285001D 00023A47
	v_add_u32_e32 v29, v4, v29                                 // 000000009D28: 683A3B04
	v_add_u32_e32 v29, s60, v29                                // 000000009D2C: 683A3A3C
	v_lshrrev_b32_e32 v4, 24, v30                              // 000000009D30: 20083C98
	v_mul_lo_u32 v4, s61, v4                                   // 000000009D34: D2850004 0002083D
	v_and_b32_e32 v30, 0xffffff, v30                           // 000000009D3C: 263C3CFF 00FFFFFF
	v_mul_lo_u32 v30, s71, v30                                 // 000000009D44: D285001E 00023C47
	v_add_u32_e32 v30, v4, v30                                 // 000000009D4C: 683C3D04
	v_add_u32_e32 v30, s60, v30                                // 000000009D50: 683C3C3C
	s_mov_b64 exec, 0xffff                                     // 000000009D54: BEFE01FF 0000FFFF
	buffer_store_dword v100, v28, s[8:11], 0 offen             // 000000009D5C: E0701000 8002641C
	buffer_store_dword v103, v28, s[8:11], 0 offen offset:4    // 000000009D64: E0701004 8002671C
	buffer_store_dword v101, v29, s[8:11], 0 offen             // 000000009D6C: E0701000 8002651D
	buffer_store_dword v104, v29, s[8:11], 0 offen offset:4    // 000000009D74: E0701004 8002681D
	buffer_store_dword v102, v30, s[8:11], 0 offen             // 000000009D7C: E0701000 8002661E
	buffer_store_dword v105, v30, s[8:11], 0 offen offset:4    // 000000009D84: E0701004 8002691E
	s_mov_b64 exec, s[36:37]                                   // 000000009D8C: BEFE0124
	s_branch label_20F6                                        // 000000009D90: BF82040E

0000000000009d94 <label_1CE8>:
	ds_write_b64 v20, v[52:53]                                 // 000000009D94: D89A0000 00003414
	ds_write_b64 v20, v[56:57] offset:8704                     // 000000009D9C: D89A2200 00003814
	ds_write_b64 v20, v[60:61] offset:17408                    // 000000009DA4: D89A4400 00003C14
	ds_write_b64 v20, v[64:65] offset:2176                     // 000000009DAC: D89A0880 00004014
	ds_write_b64 v20, v[68:69] offset:10880                    // 000000009DB4: D89A2A80 00004414
	ds_write_b64 v20, v[72:73] offset:19584                    // 000000009DBC: D89A4C80 00004814
	ds_write_b64 v20, v[76:77] offset:4352                     // 000000009DC4: D89A1100 00004C14
	ds_write_b64 v20, v[80:81] offset:13056                    // 000000009DCC: D89A3300 00005014
	ds_write_b64 v20, v[84:85] offset:21760                    // 000000009DD4: D89A5500 00005414
	ds_write_b64 v20, v[88:89] offset:6528                     // 000000009DDC: D89A1980 00005814
	ds_write_b64 v20, v[92:93] offset:15232                    // 000000009DE4: D89A3B80 00005C14
	ds_write_b64 v20, v[96:97] offset:23936                    // 000000009DEC: D89A5D80 00006014
	v_lshrrev_b32_e32 v4, 5, v0                                // 000000009DF4: 20080085
	v_xor_b32_e32 v5, 1, v4                                    // 000000009DF8: 2A0A0881
	s_mul_i32 s60, s65, 1                                      // 000000009DFC: 923C8141
	s_cmp_eq_u32 s88, 0                                        // 000000009E00: BF068058
	s_cselect_b32 s61, 1, 8                                    // 000000009E04: 853D8881
	s_mul_i32 s60, s61, s60                                    // 000000009E08: 923C3C3D
	v_readlane_b32 s82, v3, 0                                  // 000000009E0C: D2890052 00010103
	s_lshr_b32 s61, s82, 24                                    // 000000009E14: 8F3D9852
	s_and_b32 s82, s82, 0xffffff                               // 000000009E18: 8652FF52 00FFFFFF
	s_mul_i32 s82, s82, s71                                    // 000000009E20: 92524752
	s_mul_i32 s61, s60, s61                                    // 000000009E24: 923D3D3C
	s_add_u32 s82, s82, s61                                    // 000000009E28: 80523D52
	v_mul_lo_u32 v6, v5, s82                                   // 000000009E2C: D2850006 0000A505
	v_readlane_b32 s82, v3, 1                                  // 000000009E34: D2890052 00010303
	s_lshr_b32 s61, s82, 24                                    // 000000009E3C: 8F3D9852
	s_and_b32 s82, s82, 0xffffff                               // 000000009E40: 8652FF52 00FFFFFF
	s_mul_i32 s82, s82, s71                                    // 000000009E48: 92524752
	s_mul_i32 s61, s60, s61                                    // 000000009E4C: 923D3D3C
	s_add_u32 s82, s82, s61                                    // 000000009E50: 80523D52
	v_mul_lo_u32 v7, v4, s82                                   // 000000009E54: D2850007 0000A504
	v_add_u32_e32 v40, v6, v7                                  // 000000009E5C: 68500F06
	v_readlane_b32 s82, v3, 2                                  // 000000009E60: D2890052 00010503
	s_lshr_b32 s61, s82, 24                                    // 000000009E68: 8F3D9852
	s_and_b32 s82, s82, 0xffffff                               // 000000009E6C: 8652FF52 00FFFFFF
	s_mul_i32 s82, s82, s71                                    // 000000009E74: 92524752
	s_mul_i32 s61, s60, s61                                    // 000000009E78: 923D3D3C
	s_add_u32 s82, s82, s61                                    // 000000009E7C: 80523D52
	v_mul_lo_u32 v6, v5, s82                                   // 000000009E80: D2850006 0000A505
	v_readlane_b32 s82, v3, 3                                  // 000000009E88: D2890052 00010703
	s_lshr_b32 s61, s82, 24                                    // 000000009E90: 8F3D9852
	s_and_b32 s82, s82, 0xffffff                               // 000000009E94: 8652FF52 00FFFFFF
	s_mul_i32 s82, s82, s71                                    // 000000009E9C: 92524752
	s_mul_i32 s61, s60, s61                                    // 000000009EA0: 923D3D3C
	s_add_u32 s82, s82, s61                                    // 000000009EA4: 80523D52
	v_mul_lo_u32 v7, v4, s82                                   // 000000009EA8: D2850007 0000A504
	v_add_u32_e32 v41, v6, v7                                  // 000000009EB0: 68520F06
	v_readlane_b32 s82, v3, 4                                  // 000000009EB4: D2890052 00010903
	s_lshr_b32 s61, s82, 24                                    // 000000009EBC: 8F3D9852
	s_and_b32 s82, s82, 0xffffff                               // 000000009EC0: 8652FF52 00FFFFFF
	s_mul_i32 s82, s82, s71                                    // 000000009EC8: 92524752
	s_mul_i32 s61, s60, s61                                    // 000000009ECC: 923D3D3C
	s_add_u32 s82, s82, s61                                    // 000000009ED0: 80523D52
	v_mul_lo_u32 v6, v5, s82                                   // 000000009ED4: D2850006 0000A505
	v_readlane_b32 s82, v3, 5                                  // 000000009EDC: D2890052 00010B03
	s_lshr_b32 s61, s82, 24                                    // 000000009EE4: 8F3D9852
	s_and_b32 s82, s82, 0xffffff                               // 000000009EE8: 8652FF52 00FFFFFF
	s_mul_i32 s82, s82, s71                                    // 000000009EF0: 92524752
	s_mul_i32 s61, s60, s61                                    // 000000009EF4: 923D3D3C
	s_add_u32 s82, s82, s61                                    // 000000009EF8: 80523D52
	v_mul_lo_u32 v7, v4, s82                                   // 000000009EFC: D2850007 0000A504
	v_add_u32_e32 v42, v6, v7                                  // 000000009F04: 68540F06
	v_readlane_b32 s82, v3, 6                                  // 000000009F08: D2890052 00010D03
	s_lshr_b32 s61, s82, 24                                    // 000000009F10: 8F3D9852
	s_and_b32 s82, s82, 0xffffff                               // 000000009F14: 8652FF52 00FFFFFF
	s_mul_i32 s82, s82, s71                                    // 000000009F1C: 92524752
	s_mul_i32 s61, s60, s61                                    // 000000009F20: 923D3D3C
	s_add_u32 s82, s82, s61                                    // 000000009F24: 80523D52
	v_mul_lo_u32 v6, v5, s82                                   // 000000009F28: D2850006 0000A505
	v_readlane_b32 s82, v3, 7                                  // 000000009F30: D2890052 00010F03
	s_lshr_b32 s61, s82, 24                                    // 000000009F38: 8F3D9852
	s_and_b32 s82, s82, 0xffffff                               // 000000009F3C: 8652FF52 00FFFFFF
	s_mul_i32 s82, s82, s71                                    // 000000009F44: 92524752
	s_mul_i32 s61, s60, s61                                    // 000000009F48: 923D3D3C
	s_add_u32 s82, s82, s61                                    // 000000009F4C: 80523D52
	v_mul_lo_u32 v7, v4, s82                                   // 000000009F50: D2850007 0000A504
	v_add_u32_e32 v43, v6, v7                                  // 000000009F58: 68560F06
	v_readlane_b32 s82, v3, 8                                  // 000000009F5C: D2890052 00011103
	s_lshr_b32 s61, s82, 24                                    // 000000009F64: 8F3D9852
	s_and_b32 s82, s82, 0xffffff                               // 000000009F68: 8652FF52 00FFFFFF
	s_mul_i32 s82, s82, s71                                    // 000000009F70: 92524752
	s_mul_i32 s61, s60, s61                                    // 000000009F74: 923D3D3C
	s_add_u32 s82, s82, s61                                    // 000000009F78: 80523D52
	v_mul_lo_u32 v6, v5, s82                                   // 000000009F7C: D2850006 0000A505
	v_readlane_b32 s82, v3, 9                                  // 000000009F84: D2890052 00011303
	s_lshr_b32 s61, s82, 24                                    // 000000009F8C: 8F3D9852
	s_and_b32 s82, s82, 0xffffff                               // 000000009F90: 8652FF52 00FFFFFF
	s_mul_i32 s82, s82, s71                                    // 000000009F98: 92524752
	s_mul_i32 s61, s60, s61                                    // 000000009F9C: 923D3D3C
	s_add_u32 s82, s82, s61                                    // 000000009FA0: 80523D52
	v_mul_lo_u32 v7, v4, s82                                   // 000000009FA4: D2850007 0000A504
	v_add_u32_e32 v44, v6, v7                                  // 000000009FAC: 68580F06
	v_readlane_b32 s82, v3, 10                                 // 000000009FB0: D2890052 00011503
	s_lshr_b32 s61, s82, 24                                    // 000000009FB8: 8F3D9852
	s_and_b32 s82, s82, 0xffffff                               // 000000009FBC: 8652FF52 00FFFFFF
	s_mul_i32 s82, s82, s71                                    // 000000009FC4: 92524752
	s_mul_i32 s61, s60, s61                                    // 000000009FC8: 923D3D3C
	s_add_u32 s82, s82, s61                                    // 000000009FCC: 80523D52
	v_mul_lo_u32 v6, v5, s82                                   // 000000009FD0: D2850006 0000A505
	v_readlane_b32 s82, v3, 11                                 // 000000009FD8: D2890052 00011703
	s_lshr_b32 s61, s82, 24                                    // 000000009FE0: 8F3D9852
	s_and_b32 s82, s82, 0xffffff                               // 000000009FE4: 8652FF52 00FFFFFF
	s_mul_i32 s82, s82, s71                                    // 000000009FEC: 92524752
	s_mul_i32 s61, s60, s61                                    // 000000009FF0: 923D3D3C
	s_add_u32 s82, s82, s61                                    // 000000009FF4: 80523D52
	v_mul_lo_u32 v7, v4, s82                                   // 000000009FF8: D2850007 0000A504
	v_add_u32_e32 v45, v6, v7                                  // 00000000A000: 685A0F06
	v_and_b32_e32 v4, 31, v0                                   // 00000000A004: 2608009F
	v_lshrrev_b32_e32 v4, 1, v4                                // 00000000A008: 20080881
	s_cmp_eq_u32 s88, 0                                        // 00000000A00C: BF068058
	s_cselect_b32 s61, 2, 4                                    // 00000000A010: 853D8482
	v_mul_lo_u32 v4, v4, s61                                   // 00000000A014: D2850004 00007B04
	v_and_b32_e64 v5, v0, 1                                    // 00000000A01C: D1130005 00010300
	v_add_u32_e32 v4, v4, v5                                   // 00000000A024: 68080B04
	v_lshlrev_b32_e32 v4, 2, v4                                // 00000000A028: 24080882
	v_add_u32_e32 v40, v40, v4                                 // 00000000A02C: 68500928
	v_add_u32_e32 v41, v41, v4                                 // 00000000A030: 68520929
	v_add_u32_e32 v42, v42, v4                                 // 00000000A034: 6854092A
	v_add_u32_e32 v43, v43, v4                                 // 00000000A038: 6856092B
	v_add_u32_e32 v44, v44, v4                                 // 00000000A03C: 6858092C
	v_add_u32_e32 v45, v45, v4                                 // 00000000A040: 685A092D
	s_waitcnt lgkmcnt(0)                                       // 00000000A044: BF8CC07F
	s_barrier                                                  // 00000000A048: BF8A0000
	ds_read_b32 v52, v21                                       // 00000000A04C: D86C0000 34000015
	ds_read_b32 v53, v21 offset:64                             // 00000000A054: D86C0040 35000015
	ds_read_b32 v56, v21 offset:2176                           // 00000000A05C: D86C0880 38000015
	ds_read_b32 v57, v21 offset:2240                           // 00000000A064: D86C08C0 39000015
	ds_read_b32 v60, v21 offset:4352                           // 00000000A06C: D86C1100 3C000015
	ds_read_b32 v61, v21 offset:4416                           // 00000000A074: D86C1140 3D000015
	ds_read_b32 v64, v21 offset:6528                           // 00000000A07C: D86C1980 40000015
	ds_read_b32 v65, v21 offset:6592                           // 00000000A084: D86C19C0 41000015
	ds_read_b32 v68, v21 offset:8704                           // 00000000A08C: D86C2200 44000015
	ds_read_b32 v69, v21 offset:8768                           // 00000000A094: D86C2240 45000015
	ds_read_b32 v72, v21 offset:10880                          // 00000000A09C: D86C2A80 48000015
	ds_read_b32 v73, v21 offset:10944                          // 00000000A0A4: D86C2AC0 49000015
	ds_read_b32 v76, v21 offset:13056                          // 00000000A0AC: D86C3300 4C000015
	ds_read_b32 v77, v21 offset:13120                          // 00000000A0B4: D86C3340 4D000015
	ds_read_b32 v80, v21 offset:15232                          // 00000000A0BC: D86C3B80 50000015
	ds_read_b32 v81, v21 offset:15296                          // 00000000A0C4: D86C3BC0 51000015
	ds_read_b32 v84, v21 offset:17408                          // 00000000A0CC: D86C4400 54000015
	ds_read_b32 v85, v21 offset:17472                          // 00000000A0D4: D86C4440 55000015
	ds_read_b32 v88, v21 offset:19584                          // 00000000A0DC: D86C4C80 58000015
	ds_read_b32 v89, v21 offset:19648                          // 00000000A0E4: D86C4CC0 59000015
	ds_read_b32 v92, v21 offset:21760                          // 00000000A0EC: D86C5500 5C000015
	ds_read_b32 v93, v21 offset:21824                          // 00000000A0F4: D86C5540 5D000015
	ds_read_b32 v96, v21 offset:23936                          // 00000000A0FC: D86C5D80 60000015
	ds_read_b32 v97, v21 offset:24000                          // 00000000A104: D86C5DC0 61000015
	s_waitcnt lgkmcnt(0)                                       // 00000000A10C: BF8CC07F
	s_mov_b32 s36, -1                                          // 00000000A110: BEA400C1
	s_mov_b32 s37, -1                                          // 00000000A114: BEA500C1
	v_mov_b32_e32 v7, 0                                        // 00000000A118: 7E0E0280
	s_mov_b64 exec, s[36:37]                                   // 00000000A11C: BEFE0124
	v_mov_b32_e32 v6, v40                                      // 00000000A120: 7E0C0328
	s_mov_b64 s[60:61], 0                                      // 00000000A124: BEBC0180
	v_readlane_b32 s82, v3, 0                                  // 00000000A128: D2890052 00010103
	s_and_b32 s82, s82, 0xffffff                               // 00000000A130: 8652FF52 00FFFFFF
	s_cmp_lt_u32 s82, s66                                      // 00000000A138: BF0A4252
	s_cselect_b32 s20, s36, s60                                // 00000000A13C: 85143C24
	v_readlane_b32 s82, v3, 1                                  // 00000000A140: D2890052 00010303
	s_and_b32 s82, s82, 0xffffff                               // 00000000A148: 8652FF52 00FFFFFF
	s_cmp_lt_u32 s82, s66                                      // 00000000A150: BF0A4252
	s_cselect_b32 s21, s36, s60                                // 00000000A154: 85153C24
	s_mov_b64 exec, s[20:21]                                   // 00000000A158: BEFE0114
	global_atomic_add_f32 v6, v52, s[8:9]                      // 00000000A15C: DD348000 00083406
	global_atomic_add_f32 v6, v56, s[8:9] offset:256           // 00000000A164: DD348100 00083806
	global_atomic_add_f32 v6, v60, s[8:9] offset:512           // 00000000A16C: DD348200 00083C06
	global_atomic_add_f32 v6, v64, s[8:9] offset:768           // 00000000A174: DD348300 00084006
	s_mov_b64 exec, s[36:37]                                   // 00000000A17C: BEFE0124
	v_mov_b32_e32 v6, v41                                      // 00000000A180: 7E0C0329
	s_mov_b64 s[60:61], 0                                      // 00000000A184: BEBC0180
	v_readlane_b32 s82, v3, 2                                  // 00000000A188: D2890052 00010503
	s_and_b32 s82, s82, 0xffffff                               // 00000000A190: 8652FF52 00FFFFFF
	s_cmp_lt_u32 s82, s66                                      // 00000000A198: BF0A4252
	s_cselect_b32 s20, s36, s60                                // 00000000A19C: 85143C24
	v_readlane_b32 s82, v3, 3                                  // 00000000A1A0: D2890052 00010703
	s_and_b32 s82, s82, 0xffffff                               // 00000000A1A8: 8652FF52 00FFFFFF
	s_cmp_lt_u32 s82, s66                                      // 00000000A1B0: BF0A4252
	s_cselect_b32 s21, s36, s60                                // 00000000A1B4: 85153C24
	s_mov_b64 exec, s[20:21]                                   // 00000000A1B8: BEFE0114
	global_atomic_add_f32 v6, v53, s[8:9]                      // 00000000A1BC: DD348000 00083506
	global_atomic_add_f32 v6, v57, s[8:9] offset:256           // 00000000A1C4: DD348100 00083906
	global_atomic_add_f32 v6, v61, s[8:9] offset:512           // 00000000A1CC: DD348200 00083D06
	global_atomic_add_f32 v6, v65, s[8:9] offset:768           // 00000000A1D4: DD348300 00084106
	s_mov_b64 exec, s[36:37]                                   // 00000000A1DC: BEFE0124
	v_mov_b32_e32 v6, v42                                      // 00000000A1E0: 7E0C032A
	s_mov_b64 s[60:61], 0                                      // 00000000A1E4: BEBC0180
	v_readlane_b32 s82, v3, 4                                  // 00000000A1E8: D2890052 00010903
	s_and_b32 s82, s82, 0xffffff                               // 00000000A1F0: 8652FF52 00FFFFFF
	s_cmp_lt_u32 s82, s66                                      // 00000000A1F8: BF0A4252
	s_cselect_b32 s20, s36, s60                                // 00000000A1FC: 85143C24
	v_readlane_b32 s82, v3, 5                                  // 00000000A200: D2890052 00010B03
	s_and_b32 s82, s82, 0xffffff                               // 00000000A208: 8652FF52 00FFFFFF
	s_cmp_lt_u32 s82, s66                                      // 00000000A210: BF0A4252
	s_cselect_b32 s21, s36, s60                                // 00000000A214: 85153C24
	s_mov_b64 exec, s[20:21]                                   // 00000000A218: BEFE0114
	global_atomic_add_f32 v6, v68, s[8:9]                      // 00000000A21C: DD348000 00084406
	global_atomic_add_f32 v6, v72, s[8:9] offset:256           // 00000000A224: DD348100 00084806
	global_atomic_add_f32 v6, v76, s[8:9] offset:512           // 00000000A22C: DD348200 00084C06
	global_atomic_add_f32 v6, v80, s[8:9] offset:768           // 00000000A234: DD348300 00085006
	s_mov_b64 exec, s[36:37]                                   // 00000000A23C: BEFE0124
	v_mov_b32_e32 v6, v43                                      // 00000000A240: 7E0C032B
	s_mov_b64 s[60:61], 0                                      // 00000000A244: BEBC0180
	v_readlane_b32 s82, v3, 6                                  // 00000000A248: D2890052 00010D03
	s_and_b32 s82, s82, 0xffffff                               // 00000000A250: 8652FF52 00FFFFFF
	s_cmp_lt_u32 s82, s66                                      // 00000000A258: BF0A4252
	s_cselect_b32 s20, s36, s60                                // 00000000A25C: 85143C24
	v_readlane_b32 s82, v3, 7                                  // 00000000A260: D2890052 00010F03
	s_and_b32 s82, s82, 0xffffff                               // 00000000A268: 8652FF52 00FFFFFF
	s_cmp_lt_u32 s82, s66                                      // 00000000A270: BF0A4252
	s_cselect_b32 s21, s36, s60                                // 00000000A274: 85153C24
	s_mov_b64 exec, s[20:21]                                   // 00000000A278: BEFE0114
	global_atomic_add_f32 v6, v69, s[8:9]                      // 00000000A27C: DD348000 00084506
	global_atomic_add_f32 v6, v73, s[8:9] offset:256           // 00000000A284: DD348100 00084906
	global_atomic_add_f32 v6, v77, s[8:9] offset:512           // 00000000A28C: DD348200 00084D06
	global_atomic_add_f32 v6, v81, s[8:9] offset:768           // 00000000A294: DD348300 00085106
	s_mov_b64 exec, s[36:37]                                   // 00000000A29C: BEFE0124
	v_mov_b32_e32 v6, v44                                      // 00000000A2A0: 7E0C032C
	s_mov_b64 s[60:61], 0                                      // 00000000A2A4: BEBC0180
	v_readlane_b32 s82, v3, 8                                  // 00000000A2A8: D2890052 00011103
	s_and_b32 s82, s82, 0xffffff                               // 00000000A2B0: 8652FF52 00FFFFFF
	s_cmp_lt_u32 s82, s66                                      // 00000000A2B8: BF0A4252
	s_cselect_b32 s20, s36, s60                                // 00000000A2BC: 85143C24
	v_readlane_b32 s82, v3, 9                                  // 00000000A2C0: D2890052 00011303
	s_and_b32 s82, s82, 0xffffff                               // 00000000A2C8: 8652FF52 00FFFFFF
	s_cmp_lt_u32 s82, s66                                      // 00000000A2D0: BF0A4252
	s_cselect_b32 s21, s36, s60                                // 00000000A2D4: 85153C24
	s_mov_b64 exec, s[20:21]                                   // 00000000A2D8: BEFE0114
	global_atomic_add_f32 v6, v84, s[8:9]                      // 00000000A2DC: DD348000 00085406
	global_atomic_add_f32 v6, v88, s[8:9] offset:256           // 00000000A2E4: DD348100 00085806
	global_atomic_add_f32 v6, v92, s[8:9] offset:512           // 00000000A2EC: DD348200 00085C06
	global_atomic_add_f32 v6, v96, s[8:9] offset:768           // 00000000A2F4: DD348300 00086006
	s_mov_b64 exec, s[36:37]                                   // 00000000A2FC: BEFE0124
	v_mov_b32_e32 v6, v45                                      // 00000000A300: 7E0C032D
	s_mov_b64 s[60:61], 0                                      // 00000000A304: BEBC0180
	v_readlane_b32 s82, v3, 10                                 // 00000000A308: D2890052 00011503
	s_and_b32 s82, s82, 0xffffff                               // 00000000A310: 8652FF52 00FFFFFF
	s_cmp_lt_u32 s82, s66                                      // 00000000A318: BF0A4252
	s_cselect_b32 s20, s36, s60                                // 00000000A31C: 85143C24
	v_readlane_b32 s82, v3, 11                                 // 00000000A320: D2890052 00011703
	s_and_b32 s82, s82, 0xffffff                               // 00000000A328: 8652FF52 00FFFFFF
	s_cmp_lt_u32 s82, s66                                      // 00000000A330: BF0A4252
	s_cselect_b32 s21, s36, s60                                // 00000000A334: 85153C24
	s_mov_b64 exec, s[20:21]                                   // 00000000A338: BEFE0114
	global_atomic_add_f32 v6, v85, s[8:9]                      // 00000000A33C: DD348000 00085506
	global_atomic_add_f32 v6, v89, s[8:9] offset:256           // 00000000A344: DD348100 00085906
	global_atomic_add_f32 v6, v93, s[8:9] offset:512           // 00000000A34C: DD348200 00085D06
	global_atomic_add_f32 v6, v97, s[8:9] offset:768           // 00000000A354: DD348300 00086106
	s_mov_b64 exec, s[36:37]                                   // 00000000A35C: BEFE0124
	ds_write_b64 v20, v[54:55]                                 // 00000000A360: D89A0000 00003614
	ds_write_b64 v20, v[58:59] offset:8704                     // 00000000A368: D89A2200 00003A14
	ds_write_b64 v20, v[62:63] offset:17408                    // 00000000A370: D89A4400 00003E14
	ds_write_b64 v20, v[66:67] offset:2176                     // 00000000A378: D89A0880 00004214
	ds_write_b64 v20, v[70:71] offset:10880                    // 00000000A380: D89A2A80 00004614
	ds_write_b64 v20, v[74:75] offset:19584                    // 00000000A388: D89A4C80 00004A14
	ds_write_b64 v20, v[78:79] offset:4352                     // 00000000A390: D89A1100 00004E14
	ds_write_b64 v20, v[82:83] offset:13056                    // 00000000A398: D89A3300 00005214
	ds_write_b64 v20, v[86:87] offset:21760                    // 00000000A3A0: D89A5500 00005614
	ds_write_b64 v20, v[90:91] offset:6528                     // 00000000A3A8: D89A1980 00005A14
	ds_write_b64 v20, v[94:95] offset:15232                    // 00000000A3B0: D89A3B80 00005E14
	ds_write_b64 v20, v[98:99] offset:23936                    // 00000000A3B8: D89A5D80 00006214
	s_waitcnt lgkmcnt(0)                                       // 00000000A3C0: BF8CC07F
	s_barrier                                                  // 00000000A3C4: BF8A0000
	ds_read_b32 v54, v21                                       // 00000000A3C8: D86C0000 36000015
	ds_read_b32 v55, v21 offset:64                             // 00000000A3D0: D86C0040 37000015
	ds_read_b32 v58, v21 offset:2176                           // 00000000A3D8: D86C0880 3A000015
	ds_read_b32 v59, v21 offset:2240                           // 00000000A3E0: D86C08C0 3B000015
	ds_read_b32 v62, v21 offset:4352                           // 00000000A3E8: D86C1100 3E000015
	ds_read_b32 v63, v21 offset:4416                           // 00000000A3F0: D86C1140 3F000015
	ds_read_b32 v66, v21 offset:6528                           // 00000000A3F8: D86C1980 42000015
	ds_read_b32 v67, v21 offset:6592                           // 00000000A400: D86C19C0 43000015
	ds_read_b32 v70, v21 offset:8704                           // 00000000A408: D86C2200 46000015
	ds_read_b32 v71, v21 offset:8768                           // 00000000A410: D86C2240 47000015
	ds_read_b32 v74, v21 offset:10880                          // 00000000A418: D86C2A80 4A000015
	ds_read_b32 v75, v21 offset:10944                          // 00000000A420: D86C2AC0 4B000015
	ds_read_b32 v78, v21 offset:13056                          // 00000000A428: D86C3300 4E000015
	ds_read_b32 v79, v21 offset:13120                          // 00000000A430: D86C3340 4F000015
	ds_read_b32 v82, v21 offset:15232                          // 00000000A438: D86C3B80 52000015
	ds_read_b32 v83, v21 offset:15296                          // 00000000A440: D86C3BC0 53000015
	ds_read_b32 v86, v21 offset:17408                          // 00000000A448: D86C4400 56000015
	ds_read_b32 v87, v21 offset:17472                          // 00000000A450: D86C4440 57000015
	ds_read_b32 v90, v21 offset:19584                          // 00000000A458: D86C4C80 5A000015
	ds_read_b32 v91, v21 offset:19648                          // 00000000A460: D86C4CC0 5B000015
	ds_read_b32 v94, v21 offset:21760                          // 00000000A468: D86C5500 5E000015
	ds_read_b32 v95, v21 offset:21824                          // 00000000A470: D86C5540 5F000015
	ds_read_b32 v98, v21 offset:23936                          // 00000000A478: D86C5D80 62000015
	ds_read_b32 v99, v21 offset:24000                          // 00000000A480: D86C5DC0 63000015
	s_waitcnt lgkmcnt(0)                                       // 00000000A488: BF8CC07F
	v_mov_b32_e32 v7, 0                                        // 00000000A48C: 7E0E0280
	s_mov_b64 exec, s[36:37]                                   // 00000000A490: BEFE0124
	v_mov_b32_e32 v6, v40                                      // 00000000A494: 7E0C0328
	s_mov_b64 s[60:61], 0                                      // 00000000A498: BEBC0180
	v_readlane_b32 s82, v3, 0                                  // 00000000A49C: D2890052 00010103
	s_and_b32 s82, s82, 0xffffff                               // 00000000A4A4: 8652FF52 00FFFFFF
	s_cmp_lt_u32 s82, s66                                      // 00000000A4AC: BF0A4252
	s_cselect_b32 s20, s36, s60                                // 00000000A4B0: 85143C24
	v_readlane_b32 s82, v3, 1                                  // 00000000A4B4: D2890052 00010303
	s_and_b32 s82, s82, 0xffffff                               // 00000000A4BC: 8652FF52 00FFFFFF
	s_cmp_lt_u32 s82, s66                                      // 00000000A4C4: BF0A4252
	s_cselect_b32 s21, s36, s60                                // 00000000A4C8: 85153C24
	s_mov_b64 exec, s[20:21]                                   // 00000000A4CC: BEFE0114
	global_atomic_add_f32 v6, v54, s[8:9] offset:8             // 00000000A4D0: DD348008 00083606
	global_atomic_add_f32 v6, v58, s[8:9] offset:264           // 00000000A4D8: DD348108 00083A06
	global_atomic_add_f32 v6, v62, s[8:9] offset:520           // 00000000A4E0: DD348208 00083E06
	global_atomic_add_f32 v6, v66, s[8:9] offset:776           // 00000000A4E8: DD348308 00084206
	s_mov_b64 exec, s[36:37]                                   // 00000000A4F0: BEFE0124
	v_mov_b32_e32 v6, v41                                      // 00000000A4F4: 7E0C0329
	s_mov_b64 s[60:61], 0                                      // 00000000A4F8: BEBC0180
	v_readlane_b32 s82, v3, 2                                  // 00000000A4FC: D2890052 00010503
	s_and_b32 s82, s82, 0xffffff                               // 00000000A504: 8652FF52 00FFFFFF
	s_cmp_lt_u32 s82, s66                                      // 00000000A50C: BF0A4252
	s_cselect_b32 s20, s36, s60                                // 00000000A510: 85143C24
	v_readlane_b32 s82, v3, 3                                  // 00000000A514: D2890052 00010703
	s_and_b32 s82, s82, 0xffffff                               // 00000000A51C: 8652FF52 00FFFFFF
	s_cmp_lt_u32 s82, s66                                      // 00000000A524: BF0A4252
	s_cselect_b32 s21, s36, s60                                // 00000000A528: 85153C24
	s_mov_b64 exec, s[20:21]                                   // 00000000A52C: BEFE0114
	global_atomic_add_f32 v6, v55, s[8:9] offset:8             // 00000000A530: DD348008 00083706
	global_atomic_add_f32 v6, v59, s[8:9] offset:264           // 00000000A538: DD348108 00083B06
	global_atomic_add_f32 v6, v63, s[8:9] offset:520           // 00000000A540: DD348208 00083F06
	global_atomic_add_f32 v6, v67, s[8:9] offset:776           // 00000000A548: DD348308 00084306
	s_mov_b64 exec, s[36:37]                                   // 00000000A550: BEFE0124
	v_mov_b32_e32 v6, v42                                      // 00000000A554: 7E0C032A
	s_mov_b64 s[60:61], 0                                      // 00000000A558: BEBC0180
	v_readlane_b32 s82, v3, 4                                  // 00000000A55C: D2890052 00010903
	s_and_b32 s82, s82, 0xffffff                               // 00000000A564: 8652FF52 00FFFFFF
	s_cmp_lt_u32 s82, s66                                      // 00000000A56C: BF0A4252
	s_cselect_b32 s20, s36, s60                                // 00000000A570: 85143C24
	v_readlane_b32 s82, v3, 5                                  // 00000000A574: D2890052 00010B03
	s_and_b32 s82, s82, 0xffffff                               // 00000000A57C: 8652FF52 00FFFFFF
	s_cmp_lt_u32 s82, s66                                      // 00000000A584: BF0A4252
	s_cselect_b32 s21, s36, s60                                // 00000000A588: 85153C24
	s_mov_b64 exec, s[20:21]                                   // 00000000A58C: BEFE0114
	global_atomic_add_f32 v6, v70, s[8:9] offset:8             // 00000000A590: DD348008 00084606
	global_atomic_add_f32 v6, v74, s[8:9] offset:264           // 00000000A598: DD348108 00084A06
	global_atomic_add_f32 v6, v78, s[8:9] offset:520           // 00000000A5A0: DD348208 00084E06
	global_atomic_add_f32 v6, v82, s[8:9] offset:776           // 00000000A5A8: DD348308 00085206
	s_mov_b64 exec, s[36:37]                                   // 00000000A5B0: BEFE0124
	v_mov_b32_e32 v6, v43                                      // 00000000A5B4: 7E0C032B
	s_mov_b64 s[60:61], 0                                      // 00000000A5B8: BEBC0180
	v_readlane_b32 s82, v3, 6                                  // 00000000A5BC: D2890052 00010D03
	s_and_b32 s82, s82, 0xffffff                               // 00000000A5C4: 8652FF52 00FFFFFF
	s_cmp_lt_u32 s82, s66                                      // 00000000A5CC: BF0A4252
	s_cselect_b32 s20, s36, s60                                // 00000000A5D0: 85143C24
	v_readlane_b32 s82, v3, 7                                  // 00000000A5D4: D2890052 00010F03
	s_and_b32 s82, s82, 0xffffff                               // 00000000A5DC: 8652FF52 00FFFFFF
	s_cmp_lt_u32 s82, s66                                      // 00000000A5E4: BF0A4252
	s_cselect_b32 s21, s36, s60                                // 00000000A5E8: 85153C24
	s_mov_b64 exec, s[20:21]                                   // 00000000A5EC: BEFE0114
	global_atomic_add_f32 v6, v71, s[8:9] offset:8             // 00000000A5F0: DD348008 00084706
	global_atomic_add_f32 v6, v75, s[8:9] offset:264           // 00000000A5F8: DD348108 00084B06
	global_atomic_add_f32 v6, v79, s[8:9] offset:520           // 00000000A600: DD348208 00084F06
	global_atomic_add_f32 v6, v83, s[8:9] offset:776           // 00000000A608: DD348308 00085306
	s_mov_b64 exec, s[36:37]                                   // 00000000A610: BEFE0124
	v_mov_b32_e32 v6, v44                                      // 00000000A614: 7E0C032C
	s_mov_b64 s[60:61], 0                                      // 00000000A618: BEBC0180
	v_readlane_b32 s82, v3, 8                                  // 00000000A61C: D2890052 00011103
	s_and_b32 s82, s82, 0xffffff                               // 00000000A624: 8652FF52 00FFFFFF
	s_cmp_lt_u32 s82, s66                                      // 00000000A62C: BF0A4252
	s_cselect_b32 s20, s36, s60                                // 00000000A630: 85143C24
	v_readlane_b32 s82, v3, 9                                  // 00000000A634: D2890052 00011303
	s_and_b32 s82, s82, 0xffffff                               // 00000000A63C: 8652FF52 00FFFFFF
	s_cmp_lt_u32 s82, s66                                      // 00000000A644: BF0A4252
	s_cselect_b32 s21, s36, s60                                // 00000000A648: 85153C24
	s_mov_b64 exec, s[20:21]                                   // 00000000A64C: BEFE0114
	global_atomic_add_f32 v6, v86, s[8:9] offset:8             // 00000000A650: DD348008 00085606
	global_atomic_add_f32 v6, v90, s[8:9] offset:264           // 00000000A658: DD348108 00085A06
	global_atomic_add_f32 v6, v94, s[8:9] offset:520           // 00000000A660: DD348208 00085E06
	global_atomic_add_f32 v6, v98, s[8:9] offset:776           // 00000000A668: DD348308 00086206
	s_mov_b64 exec, s[36:37]                                   // 00000000A670: BEFE0124
	v_mov_b32_e32 v6, v45                                      // 00000000A674: 7E0C032D
	s_mov_b64 s[60:61], 0                                      // 00000000A678: BEBC0180
	v_readlane_b32 s82, v3, 10                                 // 00000000A67C: D2890052 00011503
	s_and_b32 s82, s82, 0xffffff                               // 00000000A684: 8652FF52 00FFFFFF
	s_cmp_lt_u32 s82, s66                                      // 00000000A68C: BF0A4252
	s_cselect_b32 s20, s36, s60                                // 00000000A690: 85143C24
	v_readlane_b32 s82, v3, 11                                 // 00000000A694: D2890052 00011703
	s_and_b32 s82, s82, 0xffffff                               // 00000000A69C: 8652FF52 00FFFFFF
	s_cmp_lt_u32 s82, s66                                      // 00000000A6A4: BF0A4252
	s_cselect_b32 s21, s36, s60                                // 00000000A6A8: 85153C24
	s_mov_b64 exec, s[20:21]                                   // 00000000A6AC: BEFE0114
	global_atomic_add_f32 v6, v87, s[8:9] offset:8             // 00000000A6B0: DD348008 00085706
	global_atomic_add_f32 v6, v91, s[8:9] offset:264           // 00000000A6B8: DD348108 00085B06
	global_atomic_add_f32 v6, v95, s[8:9] offset:520           // 00000000A6C0: DD348208 00085F06
	global_atomic_add_f32 v6, v99, s[8:9] offset:776           // 00000000A6C8: DD348308 00086306
	s_mov_b64 exec, s[36:37]                                   // 00000000A6D0: BEFE0124
	ds_write_b64 v20, v[100:101]                               // 00000000A6D4: D89A0000 00006414
	ds_write_b64 v20, v[104:105] offset:8704                   // 00000000A6DC: D89A2200 00006814
	ds_write_b64 v20, v[108:109] offset:17408                  // 00000000A6E4: D89A4400 00006C14
	ds_write_b64 v20, v[112:113] offset:2176                   // 00000000A6EC: D89A0880 00007014
	ds_write_b64 v20, v[116:117] offset:10880                  // 00000000A6F4: D89A2A80 00007414
	ds_write_b64 v20, v[120:121] offset:19584                  // 00000000A6FC: D89A4C80 00007814
	ds_write_b64 v20, v[124:125] offset:4352                   // 00000000A704: D89A1100 00007C14
	ds_write_b64 v20, v[128:129] offset:13056                  // 00000000A70C: D89A3300 00008014
	ds_write_b64 v20, v[132:133] offset:21760                  // 00000000A714: D89A5500 00008414
	ds_write_b64 v20, v[136:137] offset:6528                   // 00000000A71C: D89A1980 00008814
	ds_write_b64 v20, v[140:141] offset:15232                  // 00000000A724: D89A3B80 00008C14
	ds_write_b64 v20, v[144:145] offset:23936                  // 00000000A72C: D89A5D80 00009014
	s_waitcnt lgkmcnt(0)                                       // 00000000A734: BF8CC07F
	s_barrier                                                  // 00000000A738: BF8A0000
	ds_read_b32 v100, v21                                      // 00000000A73C: D86C0000 64000015
	ds_read_b32 v101, v21 offset:64                            // 00000000A744: D86C0040 65000015
	ds_read_b32 v104, v21 offset:2176                          // 00000000A74C: D86C0880 68000015
	ds_read_b32 v105, v21 offset:2240                          // 00000000A754: D86C08C0 69000015
	ds_read_b32 v108, v21 offset:4352                          // 00000000A75C: D86C1100 6C000015
	ds_read_b32 v109, v21 offset:4416                          // 00000000A764: D86C1140 6D000015
	ds_read_b32 v112, v21 offset:6528                          // 00000000A76C: D86C1980 70000015
	ds_read_b32 v113, v21 offset:6592                          // 00000000A774: D86C19C0 71000015
	ds_read_b32 v116, v21 offset:8704                          // 00000000A77C: D86C2200 74000015
	ds_read_b32 v117, v21 offset:8768                          // 00000000A784: D86C2240 75000015
	ds_read_b32 v120, v21 offset:10880                         // 00000000A78C: D86C2A80 78000015
	ds_read_b32 v121, v21 offset:10944                         // 00000000A794: D86C2AC0 79000015
	ds_read_b32 v124, v21 offset:13056                         // 00000000A79C: D86C3300 7C000015
	ds_read_b32 v125, v21 offset:13120                         // 00000000A7A4: D86C3340 7D000015
	ds_read_b32 v128, v21 offset:15232                         // 00000000A7AC: D86C3B80 80000015
	ds_read_b32 v129, v21 offset:15296                         // 00000000A7B4: D86C3BC0 81000015
	ds_read_b32 v132, v21 offset:17408                         // 00000000A7BC: D86C4400 84000015
	ds_read_b32 v133, v21 offset:17472                         // 00000000A7C4: D86C4440 85000015
	ds_read_b32 v136, v21 offset:19584                         // 00000000A7CC: D86C4C80 88000015
	ds_read_b32 v137, v21 offset:19648                         // 00000000A7D4: D86C4CC0 89000015
	ds_read_b32 v140, v21 offset:21760                         // 00000000A7DC: D86C5500 8C000015
	ds_read_b32 v141, v21 offset:21824                         // 00000000A7E4: D86C5540 8D000015
	ds_read_b32 v144, v21 offset:23936                         // 00000000A7EC: D86C5D80 90000015
	ds_read_b32 v145, v21 offset:24000                         // 00000000A7F4: D86C5DC0 91000015
	s_mul_i32 s60, s65, 4                                      // 00000000A7FC: 923C8441
	s_add_u32 s8, s60, s8                                      // 00000000A800: 8008083C
	s_addc_u32 s9, 0, s9                                       // 00000000A804: 82090980
	s_waitcnt lgkmcnt(0)                                       // 00000000A808: BF8CC07F
	v_mov_b32_e32 v7, 0                                        // 00000000A80C: 7E0E0280
	s_mov_b64 exec, s[36:37]                                   // 00000000A810: BEFE0124
	v_mov_b32_e32 v6, v40                                      // 00000000A814: 7E0C0328
	s_mov_b64 s[60:61], 0                                      // 00000000A818: BEBC0180
	v_readlane_b32 s82, v3, 0                                  // 00000000A81C: D2890052 00010103
	s_and_b32 s82, s82, 0xffffff                               // 00000000A824: 8652FF52 00FFFFFF
	s_cmp_lt_u32 s82, s66                                      // 00000000A82C: BF0A4252
	s_cselect_b32 s20, s36, s60                                // 00000000A830: 85143C24
	v_readlane_b32 s82, v3, 1                                  // 00000000A834: D2890052 00010303
	s_and_b32 s82, s82, 0xffffff                               // 00000000A83C: 8652FF52 00FFFFFF
	s_cmp_lt_u32 s82, s66                                      // 00000000A844: BF0A4252
	s_cselect_b32 s21, s36, s60                                // 00000000A848: 85153C24
	s_mov_b64 exec, s[20:21]                                   // 00000000A84C: BEFE0114
	global_atomic_add_f32 v6, v100, s[8:9]                     // 00000000A850: DD348000 00086406
	global_atomic_add_f32 v6, v104, s[8:9] offset:256          // 00000000A858: DD348100 00086806
	global_atomic_add_f32 v6, v108, s[8:9] offset:512          // 00000000A860: DD348200 00086C06
	global_atomic_add_f32 v6, v112, s[8:9] offset:768          // 00000000A868: DD348300 00087006
	s_mov_b64 exec, s[36:37]                                   // 00000000A870: BEFE0124
	v_mov_b32_e32 v6, v41                                      // 00000000A874: 7E0C0329
	s_mov_b64 s[60:61], 0                                      // 00000000A878: BEBC0180
	v_readlane_b32 s82, v3, 2                                  // 00000000A87C: D2890052 00010503
	s_and_b32 s82, s82, 0xffffff                               // 00000000A884: 8652FF52 00FFFFFF
	s_cmp_lt_u32 s82, s66                                      // 00000000A88C: BF0A4252
	s_cselect_b32 s20, s36, s60                                // 00000000A890: 85143C24
	v_readlane_b32 s82, v3, 3                                  // 00000000A894: D2890052 00010703
	s_and_b32 s82, s82, 0xffffff                               // 00000000A89C: 8652FF52 00FFFFFF
	s_cmp_lt_u32 s82, s66                                      // 00000000A8A4: BF0A4252
	s_cselect_b32 s21, s36, s60                                // 00000000A8A8: 85153C24
	s_mov_b64 exec, s[20:21]                                   // 00000000A8AC: BEFE0114
	global_atomic_add_f32 v6, v101, s[8:9]                     // 00000000A8B0: DD348000 00086506
	global_atomic_add_f32 v6, v105, s[8:9] offset:256          // 00000000A8B8: DD348100 00086906
	global_atomic_add_f32 v6, v109, s[8:9] offset:512          // 00000000A8C0: DD348200 00086D06
	global_atomic_add_f32 v6, v113, s[8:9] offset:768          // 00000000A8C8: DD348300 00087106
	s_mov_b64 exec, s[36:37]                                   // 00000000A8D0: BEFE0124
	v_mov_b32_e32 v6, v42                                      // 00000000A8D4: 7E0C032A
	s_mov_b64 s[60:61], 0                                      // 00000000A8D8: BEBC0180
	v_readlane_b32 s82, v3, 4                                  // 00000000A8DC: D2890052 00010903
	s_and_b32 s82, s82, 0xffffff                               // 00000000A8E4: 8652FF52 00FFFFFF
	s_cmp_lt_u32 s82, s66                                      // 00000000A8EC: BF0A4252
	s_cselect_b32 s20, s36, s60                                // 00000000A8F0: 85143C24
	v_readlane_b32 s82, v3, 5                                  // 00000000A8F4: D2890052 00010B03
	s_and_b32 s82, s82, 0xffffff                               // 00000000A8FC: 8652FF52 00FFFFFF
	s_cmp_lt_u32 s82, s66                                      // 00000000A904: BF0A4252
	s_cselect_b32 s21, s36, s60                                // 00000000A908: 85153C24
	s_mov_b64 exec, s[20:21]                                   // 00000000A90C: BEFE0114
	global_atomic_add_f32 v6, v116, s[8:9]                     // 00000000A910: DD348000 00087406
	global_atomic_add_f32 v6, v120, s[8:9] offset:256          // 00000000A918: DD348100 00087806
	global_atomic_add_f32 v6, v124, s[8:9] offset:512          // 00000000A920: DD348200 00087C06
	global_atomic_add_f32 v6, v128, s[8:9] offset:768          // 00000000A928: DD348300 00088006
	s_mov_b64 exec, s[36:37]                                   // 00000000A930: BEFE0124
	v_mov_b32_e32 v6, v43                                      // 00000000A934: 7E0C032B
	s_mov_b64 s[60:61], 0                                      // 00000000A938: BEBC0180
	v_readlane_b32 s82, v3, 6                                  // 00000000A93C: D2890052 00010D03
	s_and_b32 s82, s82, 0xffffff                               // 00000000A944: 8652FF52 00FFFFFF
	s_cmp_lt_u32 s82, s66                                      // 00000000A94C: BF0A4252
	s_cselect_b32 s20, s36, s60                                // 00000000A950: 85143C24
	v_readlane_b32 s82, v3, 7                                  // 00000000A954: D2890052 00010F03
	s_and_b32 s82, s82, 0xffffff                               // 00000000A95C: 8652FF52 00FFFFFF
	s_cmp_lt_u32 s82, s66                                      // 00000000A964: BF0A4252
	s_cselect_b32 s21, s36, s60                                // 00000000A968: 85153C24
	s_mov_b64 exec, s[20:21]                                   // 00000000A96C: BEFE0114
	global_atomic_add_f32 v6, v117, s[8:9]                     // 00000000A970: DD348000 00087506
	global_atomic_add_f32 v6, v121, s[8:9] offset:256          // 00000000A978: DD348100 00087906
	global_atomic_add_f32 v6, v125, s[8:9] offset:512          // 00000000A980: DD348200 00087D06
	global_atomic_add_f32 v6, v129, s[8:9] offset:768          // 00000000A988: DD348300 00088106
	s_mov_b64 exec, s[36:37]                                   // 00000000A990: BEFE0124
	v_mov_b32_e32 v6, v44                                      // 00000000A994: 7E0C032C
	s_mov_b64 s[60:61], 0                                      // 00000000A998: BEBC0180
	v_readlane_b32 s82, v3, 8                                  // 00000000A99C: D2890052 00011103
	s_and_b32 s82, s82, 0xffffff                               // 00000000A9A4: 8652FF52 00FFFFFF
	s_cmp_lt_u32 s82, s66                                      // 00000000A9AC: BF0A4252
	s_cselect_b32 s20, s36, s60                                // 00000000A9B0: 85143C24
	v_readlane_b32 s82, v3, 9                                  // 00000000A9B4: D2890052 00011303
	s_and_b32 s82, s82, 0xffffff                               // 00000000A9BC: 8652FF52 00FFFFFF
	s_cmp_lt_u32 s82, s66                                      // 00000000A9C4: BF0A4252
	s_cselect_b32 s21, s36, s60                                // 00000000A9C8: 85153C24
	s_mov_b64 exec, s[20:21]                                   // 00000000A9CC: BEFE0114
	global_atomic_add_f32 v6, v132, s[8:9]                     // 00000000A9D0: DD348000 00088406
	global_atomic_add_f32 v6, v136, s[8:9] offset:256          // 00000000A9D8: DD348100 00088806
	global_atomic_add_f32 v6, v140, s[8:9] offset:512          // 00000000A9E0: DD348200 00088C06
	global_atomic_add_f32 v6, v144, s[8:9] offset:768          // 00000000A9E8: DD348300 00089006
	s_mov_b64 exec, s[36:37]                                   // 00000000A9F0: BEFE0124
	v_mov_b32_e32 v6, v45                                      // 00000000A9F4: 7E0C032D
	s_mov_b64 s[60:61], 0                                      // 00000000A9F8: BEBC0180
	v_readlane_b32 s82, v3, 10                                 // 00000000A9FC: D2890052 00011503
	s_and_b32 s82, s82, 0xffffff                               // 00000000AA04: 8652FF52 00FFFFFF
	s_cmp_lt_u32 s82, s66                                      // 00000000AA0C: BF0A4252
	s_cselect_b32 s20, s36, s60                                // 00000000AA10: 85143C24
	v_readlane_b32 s82, v3, 11                                 // 00000000AA14: D2890052 00011703
	s_and_b32 s82, s82, 0xffffff                               // 00000000AA1C: 8652FF52 00FFFFFF
	s_cmp_lt_u32 s82, s66                                      // 00000000AA24: BF0A4252
	s_cselect_b32 s21, s36, s60                                // 00000000AA28: 85153C24
	s_mov_b64 exec, s[20:21]                                   // 00000000AA2C: BEFE0114
	global_atomic_add_f32 v6, v133, s[8:9]                     // 00000000AA30: DD348000 00088506
	global_atomic_add_f32 v6, v137, s[8:9] offset:256          // 00000000AA38: DD348100 00088906
	global_atomic_add_f32 v6, v141, s[8:9] offset:512          // 00000000AA40: DD348200 00088D06
	global_atomic_add_f32 v6, v145, s[8:9] offset:768          // 00000000AA48: DD348300 00089106
	s_mov_b64 exec, s[36:37]                                   // 00000000AA50: BEFE0124
	ds_write_b64 v20, v[102:103]                               // 00000000AA54: D89A0000 00006614
	ds_write_b64 v20, v[106:107] offset:8704                   // 00000000AA5C: D89A2200 00006A14
	ds_write_b64 v20, v[110:111] offset:17408                  // 00000000AA64: D89A4400 00006E14
	ds_write_b64 v20, v[114:115] offset:2176                   // 00000000AA6C: D89A0880 00007214
	ds_write_b64 v20, v[118:119] offset:10880                  // 00000000AA74: D89A2A80 00007614
	ds_write_b64 v20, v[122:123] offset:19584                  // 00000000AA7C: D89A4C80 00007A14
	ds_write_b64 v20, v[126:127] offset:4352                   // 00000000AA84: D89A1100 00007E14
	ds_write_b64 v20, v[130:131] offset:13056                  // 00000000AA8C: D89A3300 00008214
	ds_write_b64 v20, v[134:135] offset:21760                  // 00000000AA94: D89A5500 00008614
	ds_write_b64 v20, v[138:139] offset:6528                   // 00000000AA9C: D89A1980 00008A14
	ds_write_b64 v20, v[142:143] offset:15232                  // 00000000AAA4: D89A3B80 00008E14
	ds_write_b64 v20, v[146:147] offset:23936                  // 00000000AAAC: D89A5D80 00009214
	s_waitcnt lgkmcnt(0)                                       // 00000000AAB4: BF8CC07F
	s_barrier                                                  // 00000000AAB8: BF8A0000
	ds_read_b32 v102, v21                                      // 00000000AABC: D86C0000 66000015
	ds_read_b32 v103, v21 offset:64                            // 00000000AAC4: D86C0040 67000015
	ds_read_b32 v106, v21 offset:2176                          // 00000000AACC: D86C0880 6A000015
	ds_read_b32 v107, v21 offset:2240                          // 00000000AAD4: D86C08C0 6B000015
	ds_read_b32 v110, v21 offset:4352                          // 00000000AADC: D86C1100 6E000015
	ds_read_b32 v111, v21 offset:4416                          // 00000000AAE4: D86C1140 6F000015
	ds_read_b32 v114, v21 offset:6528                          // 00000000AAEC: D86C1980 72000015
	ds_read_b32 v115, v21 offset:6592                          // 00000000AAF4: D86C19C0 73000015
	ds_read_b32 v118, v21 offset:8704                          // 00000000AAFC: D86C2200 76000015
	ds_read_b32 v119, v21 offset:8768                          // 00000000AB04: D86C2240 77000015
	ds_read_b32 v122, v21 offset:10880                         // 00000000AB0C: D86C2A80 7A000015
	ds_read_b32 v123, v21 offset:10944                         // 00000000AB14: D86C2AC0 7B000015
	ds_read_b32 v126, v21 offset:13056                         // 00000000AB1C: D86C3300 7E000015
	ds_read_b32 v127, v21 offset:13120                         // 00000000AB24: D86C3340 7F000015
	ds_read_b32 v130, v21 offset:15232                         // 00000000AB2C: D86C3B80 82000015
	ds_read_b32 v131, v21 offset:15296                         // 00000000AB34: D86C3BC0 83000015
	ds_read_b32 v134, v21 offset:17408                         // 00000000AB3C: D86C4400 86000015
	ds_read_b32 v135, v21 offset:17472                         // 00000000AB44: D86C4440 87000015
	ds_read_b32 v138, v21 offset:19584                         // 00000000AB4C: D86C4C80 8A000015
	ds_read_b32 v139, v21 offset:19648                         // 00000000AB54: D86C4CC0 8B000015
	ds_read_b32 v142, v21 offset:21760                         // 00000000AB5C: D86C5500 8E000015
	ds_read_b32 v143, v21 offset:21824                         // 00000000AB64: D86C5540 8F000015
	ds_read_b32 v146, v21 offset:23936                         // 00000000AB6C: D86C5D80 92000015
	ds_read_b32 v147, v21 offset:24000                         // 00000000AB74: D86C5DC0 93000015
	s_waitcnt lgkmcnt(0)                                       // 00000000AB7C: BF8CC07F
	v_mov_b32_e32 v7, 0                                        // 00000000AB80: 7E0E0280
	s_mov_b64 exec, s[36:37]                                   // 00000000AB84: BEFE0124
	v_mov_b32_e32 v6, v40                                      // 00000000AB88: 7E0C0328
	s_mov_b64 s[60:61], 0                                      // 00000000AB8C: BEBC0180
	v_readlane_b32 s82, v3, 0                                  // 00000000AB90: D2890052 00010103
	s_and_b32 s82, s82, 0xffffff                               // 00000000AB98: 8652FF52 00FFFFFF
	s_cmp_lt_u32 s82, s66                                      // 00000000ABA0: BF0A4252
	s_cselect_b32 s20, s36, s60                                // 00000000ABA4: 85143C24
	v_readlane_b32 s82, v3, 1                                  // 00000000ABA8: D2890052 00010303
	s_and_b32 s82, s82, 0xffffff                               // 00000000ABB0: 8652FF52 00FFFFFF
	s_cmp_lt_u32 s82, s66                                      // 00000000ABB8: BF0A4252
	s_cselect_b32 s21, s36, s60                                // 00000000ABBC: 85153C24
	s_mov_b64 exec, s[20:21]                                   // 00000000ABC0: BEFE0114
	global_atomic_add_f32 v6, v102, s[8:9] offset:8            // 00000000ABC4: DD348008 00086606
	global_atomic_add_f32 v6, v106, s[8:9] offset:264          // 00000000ABCC: DD348108 00086A06
	global_atomic_add_f32 v6, v110, s[8:9] offset:520          // 00000000ABD4: DD348208 00086E06
	global_atomic_add_f32 v6, v114, s[8:9] offset:776          // 00000000ABDC: DD348308 00087206
	s_mov_b64 exec, s[36:37]                                   // 00000000ABE4: BEFE0124
	v_mov_b32_e32 v6, v41                                      // 00000000ABE8: 7E0C0329
	s_mov_b64 s[60:61], 0                                      // 00000000ABEC: BEBC0180
	v_readlane_b32 s82, v3, 2                                  // 00000000ABF0: D2890052 00010503
	s_and_b32 s82, s82, 0xffffff                               // 00000000ABF8: 8652FF52 00FFFFFF
	s_cmp_lt_u32 s82, s66                                      // 00000000AC00: BF0A4252
	s_cselect_b32 s20, s36, s60                                // 00000000AC04: 85143C24
	v_readlane_b32 s82, v3, 3                                  // 00000000AC08: D2890052 00010703
	s_and_b32 s82, s82, 0xffffff                               // 00000000AC10: 8652FF52 00FFFFFF
	s_cmp_lt_u32 s82, s66                                      // 00000000AC18: BF0A4252
	s_cselect_b32 s21, s36, s60                                // 00000000AC1C: 85153C24
	s_mov_b64 exec, s[20:21]                                   // 00000000AC20: BEFE0114
	global_atomic_add_f32 v6, v103, s[8:9] offset:8            // 00000000AC24: DD348008 00086706
	global_atomic_add_f32 v6, v107, s[8:9] offset:264          // 00000000AC2C: DD348108 00086B06
	global_atomic_add_f32 v6, v111, s[8:9] offset:520          // 00000000AC34: DD348208 00086F06
	global_atomic_add_f32 v6, v115, s[8:9] offset:776          // 00000000AC3C: DD348308 00087306
	s_mov_b64 exec, s[36:37]                                   // 00000000AC44: BEFE0124
	v_mov_b32_e32 v6, v42                                      // 00000000AC48: 7E0C032A
	s_mov_b64 s[60:61], 0                                      // 00000000AC4C: BEBC0180
	v_readlane_b32 s82, v3, 4                                  // 00000000AC50: D2890052 00010903
	s_and_b32 s82, s82, 0xffffff                               // 00000000AC58: 8652FF52 00FFFFFF
	s_cmp_lt_u32 s82, s66                                      // 00000000AC60: BF0A4252
	s_cselect_b32 s20, s36, s60                                // 00000000AC64: 85143C24
	v_readlane_b32 s82, v3, 5                                  // 00000000AC68: D2890052 00010B03
	s_and_b32 s82, s82, 0xffffff                               // 00000000AC70: 8652FF52 00FFFFFF
	s_cmp_lt_u32 s82, s66                                      // 00000000AC78: BF0A4252
	s_cselect_b32 s21, s36, s60                                // 00000000AC7C: 85153C24
	s_mov_b64 exec, s[20:21]                                   // 00000000AC80: BEFE0114
	global_atomic_add_f32 v6, v118, s[8:9] offset:8            // 00000000AC84: DD348008 00087606
	global_atomic_add_f32 v6, v122, s[8:9] offset:264          // 00000000AC8C: DD348108 00087A06
	global_atomic_add_f32 v6, v126, s[8:9] offset:520          // 00000000AC94: DD348208 00087E06
	global_atomic_add_f32 v6, v130, s[8:9] offset:776          // 00000000AC9C: DD348308 00088206
	s_mov_b64 exec, s[36:37]                                   // 00000000ACA4: BEFE0124
	v_mov_b32_e32 v6, v43                                      // 00000000ACA8: 7E0C032B
	s_mov_b64 s[60:61], 0                                      // 00000000ACAC: BEBC0180
	v_readlane_b32 s82, v3, 6                                  // 00000000ACB0: D2890052 00010D03
	s_and_b32 s82, s82, 0xffffff                               // 00000000ACB8: 8652FF52 00FFFFFF
	s_cmp_lt_u32 s82, s66                                      // 00000000ACC0: BF0A4252
	s_cselect_b32 s20, s36, s60                                // 00000000ACC4: 85143C24
	v_readlane_b32 s82, v3, 7                                  // 00000000ACC8: D2890052 00010F03
	s_and_b32 s82, s82, 0xffffff                               // 00000000ACD0: 8652FF52 00FFFFFF
	s_cmp_lt_u32 s82, s66                                      // 00000000ACD8: BF0A4252
	s_cselect_b32 s21, s36, s60                                // 00000000ACDC: 85153C24
	s_mov_b64 exec, s[20:21]                                   // 00000000ACE0: BEFE0114
	global_atomic_add_f32 v6, v119, s[8:9] offset:8            // 00000000ACE4: DD348008 00087706
	global_atomic_add_f32 v6, v123, s[8:9] offset:264          // 00000000ACEC: DD348108 00087B06
	global_atomic_add_f32 v6, v127, s[8:9] offset:520          // 00000000ACF4: DD348208 00087F06
	global_atomic_add_f32 v6, v131, s[8:9] offset:776          // 00000000ACFC: DD348308 00088306
	s_mov_b64 exec, s[36:37]                                   // 00000000AD04: BEFE0124
	v_mov_b32_e32 v6, v44                                      // 00000000AD08: 7E0C032C
	s_mov_b64 s[60:61], 0                                      // 00000000AD0C: BEBC0180
	v_readlane_b32 s82, v3, 8                                  // 00000000AD10: D2890052 00011103
	s_and_b32 s82, s82, 0xffffff                               // 00000000AD18: 8652FF52 00FFFFFF
	s_cmp_lt_u32 s82, s66                                      // 00000000AD20: BF0A4252
	s_cselect_b32 s20, s36, s60                                // 00000000AD24: 85143C24
	v_readlane_b32 s82, v3, 9                                  // 00000000AD28: D2890052 00011303
	s_and_b32 s82, s82, 0xffffff                               // 00000000AD30: 8652FF52 00FFFFFF
	s_cmp_lt_u32 s82, s66                                      // 00000000AD38: BF0A4252
	s_cselect_b32 s21, s36, s60                                // 00000000AD3C: 85153C24
	s_mov_b64 exec, s[20:21]                                   // 00000000AD40: BEFE0114
	global_atomic_add_f32 v6, v134, s[8:9] offset:8            // 00000000AD44: DD348008 00088606
	global_atomic_add_f32 v6, v138, s[8:9] offset:264          // 00000000AD4C: DD348108 00088A06
	global_atomic_add_f32 v6, v142, s[8:9] offset:520          // 00000000AD54: DD348208 00088E06
	global_atomic_add_f32 v6, v146, s[8:9] offset:776          // 00000000AD5C: DD348308 00089206
	s_mov_b64 exec, s[36:37]                                   // 00000000AD64: BEFE0124
	v_mov_b32_e32 v6, v45                                      // 00000000AD68: 7E0C032D
	s_mov_b64 s[60:61], 0                                      // 00000000AD6C: BEBC0180
	v_readlane_b32 s82, v3, 10                                 // 00000000AD70: D2890052 00011503
	s_and_b32 s82, s82, 0xffffff                               // 00000000AD78: 8652FF52 00FFFFFF
	s_cmp_lt_u32 s82, s66                                      // 00000000AD80: BF0A4252
	s_cselect_b32 s20, s36, s60                                // 00000000AD84: 85143C24
	v_readlane_b32 s82, v3, 11                                 // 00000000AD88: D2890052 00011703
	s_and_b32 s82, s82, 0xffffff                               // 00000000AD90: 8652FF52 00FFFFFF
	s_cmp_lt_u32 s82, s66                                      // 00000000AD98: BF0A4252
	s_cselect_b32 s21, s36, s60                                // 00000000AD9C: 85153C24
	s_mov_b64 exec, s[20:21]                                   // 00000000ADA0: BEFE0114
	global_atomic_add_f32 v6, v135, s[8:9] offset:8            // 00000000ADA4: DD348008 00088706
	global_atomic_add_f32 v6, v139, s[8:9] offset:264          // 00000000ADAC: DD348108 00088B06
	global_atomic_add_f32 v6, v143, s[8:9] offset:520          // 00000000ADB4: DD348208 00088F06
	global_atomic_add_f32 v6, v147, s[8:9] offset:776          // 00000000ADBC: DD348308 00089306
	s_mov_b64 exec, s[36:37]                                   // 00000000ADC4: BEFE0124
	s_branch label_20F6                                        // 00000000ADC8: BF820000

000000000000adcc <label_20F6>:
	s_waitcnt vmcnt(0) expcnt(0) lgkmcnt(0)                    // 00000000ADCC: BF8C0000
	s_endpgm                                                   // 00000000ADD0: BF810000
